;; amdgpu-corpus repo=ROCm/rocFFT kind=compiled arch=gfx950 opt=O3
	.text
	.amdgcn_target "amdgcn-amd-amdhsa--gfx950"
	.amdhsa_code_object_version 6
	.protected	fft_rtc_back_len1200_factors_5_5_16_3_wgs_225_tpt_75_halfLds_sp_op_CI_CI_sbrr_dirReg ; -- Begin function fft_rtc_back_len1200_factors_5_5_16_3_wgs_225_tpt_75_halfLds_sp_op_CI_CI_sbrr_dirReg
	.globl	fft_rtc_back_len1200_factors_5_5_16_3_wgs_225_tpt_75_halfLds_sp_op_CI_CI_sbrr_dirReg
	.p2align	8
	.type	fft_rtc_back_len1200_factors_5_5_16_3_wgs_225_tpt_75_halfLds_sp_op_CI_CI_sbrr_dirReg,@function
fft_rtc_back_len1200_factors_5_5_16_3_wgs_225_tpt_75_halfLds_sp_op_CI_CI_sbrr_dirReg: ; @fft_rtc_back_len1200_factors_5_5_16_3_wgs_225_tpt_75_halfLds_sp_op_CI_CI_sbrr_dirReg
; %bb.0:
	s_load_dwordx4 s[12:15], s[0:1], 0x18
	s_load_dwordx4 s[4:7], s[0:1], 0x0
	;; [unrolled: 1-line block ×3, first 2 shown]
	v_mul_u32_u24_e32 v1, 0x36a, v0
	v_lshrrev_b32_e32 v2, 16, v1
	s_waitcnt lgkmcnt(0)
	s_load_dwordx2 s[18:19], s[12:13], 0x0
	s_load_dwordx2 s[16:17], s[14:15], 0x0
	v_mad_u64_u32 v[2:3], s[2:3], s2, 3, v[2:3]
	v_mov_b32_e32 v4, 0
	v_mov_b32_e32 v3, v4
	v_cmp_lt_u64_e64 s[2:3], s[6:7], 2
	v_mov_b64_e32 v[54:55], 0
	s_and_b64 vcc, exec, s[2:3]
	v_mov_b64_e32 v[8:9], v[54:55]
	v_mov_b64_e32 v[10:11], v[2:3]
	s_cbranch_vccnz .LBB0_8
; %bb.1:
	s_load_dwordx2 s[2:3], s[0:1], 0x10
	s_add_u32 s20, s14, 8
	s_addc_u32 s21, s15, 0
	s_add_u32 s22, s12, 8
	s_addc_u32 s23, s13, 0
	s_waitcnt lgkmcnt(0)
	s_add_u32 s24, s2, 8
	v_mov_b64_e32 v[54:55], 0
	s_addc_u32 s25, s3, 0
	s_mov_b64 s[26:27], 1
	v_mov_b64_e32 v[8:9], v[54:55]
	v_mov_b64_e32 v[6:7], v[2:3]
.LBB0_2:                                ; =>This Inner Loop Header: Depth=1
	s_load_dwordx2 s[28:29], s[24:25], 0x0
                                        ; implicit-def: $vgpr10_vgpr11
	s_waitcnt lgkmcnt(0)
	v_or_b32_e32 v5, s29, v7
	v_cmp_ne_u64_e32 vcc, 0, v[4:5]
	s_and_saveexec_b64 s[2:3], vcc
	s_xor_b64 s[30:31], exec, s[2:3]
	s_cbranch_execz .LBB0_4
; %bb.3:                                ;   in Loop: Header=BB0_2 Depth=1
	v_cvt_f32_u32_e32 v1, s28
	v_cvt_f32_u32_e32 v3, s29
	s_sub_u32 s2, 0, s28
	s_subb_u32 s3, 0, s29
	v_fmac_f32_e32 v1, 0x4f800000, v3
	v_rcp_f32_e32 v1, v1
	s_nop 0
	v_mul_f32_e32 v1, 0x5f7ffffc, v1
	v_mul_f32_e32 v3, 0x2f800000, v1
	v_trunc_f32_e32 v3, v3
	v_fmac_f32_e32 v1, 0xcf800000, v3
	v_cvt_u32_f32_e32 v3, v3
	v_cvt_u32_f32_e32 v1, v1
	v_mul_lo_u32 v5, s2, v3
	v_mul_hi_u32 v10, s2, v1
	v_mul_lo_u32 v11, s3, v1
	v_add_u32_e32 v5, v10, v5
	v_mul_lo_u32 v14, s2, v1
	v_add_u32_e32 v5, v5, v11
	v_mul_hi_u32 v10, v1, v14
	v_mul_hi_u32 v13, v1, v5
	v_mul_lo_u32 v12, v1, v5
	v_mov_b32_e32 v11, v4
	v_lshl_add_u64 v[10:11], v[10:11], 0, v[12:13]
	v_mul_hi_u32 v13, v3, v14
	v_mul_lo_u32 v14, v3, v14
	v_add_co_u32_e32 v10, vcc, v10, v14
	v_mul_hi_u32 v12, v3, v5
	s_nop 0
	v_addc_co_u32_e32 v10, vcc, v11, v13, vcc
	v_mov_b32_e32 v11, v4
	s_nop 0
	v_addc_co_u32_e32 v13, vcc, 0, v12, vcc
	v_mul_lo_u32 v12, v3, v5
	v_lshl_add_u64 v[10:11], v[10:11], 0, v[12:13]
	v_add_co_u32_e32 v1, vcc, v1, v10
	v_mul_hi_u32 v10, s2, v1
	s_nop 0
	v_addc_co_u32_e32 v3, vcc, v3, v11, vcc
	v_mul_lo_u32 v5, s2, v3
	v_add_u32_e32 v5, v10, v5
	v_mul_lo_u32 v10, s3, v1
	v_add_u32_e32 v5, v5, v10
	v_mul_lo_u32 v12, s2, v1
	v_mul_hi_u32 v15, v3, v12
	v_mul_lo_u32 v16, v3, v12
	v_mul_hi_u32 v11, v1, v5
	v_mul_lo_u32 v10, v1, v5
	v_mul_hi_u32 v12, v1, v12
	v_mov_b32_e32 v13, v4
	v_lshl_add_u64 v[10:11], v[12:13], 0, v[10:11]
	v_add_co_u32_e32 v10, vcc, v10, v16
	v_mul_hi_u32 v14, v3, v5
	s_nop 0
	v_addc_co_u32_e32 v10, vcc, v11, v15, vcc
	v_mul_lo_u32 v12, v3, v5
	s_nop 0
	v_addc_co_u32_e32 v13, vcc, 0, v14, vcc
	v_mov_b32_e32 v11, v4
	v_lshl_add_u64 v[10:11], v[10:11], 0, v[12:13]
	v_add_co_u32_e32 v1, vcc, v1, v10
	v_mul_hi_u32 v12, v6, v1
	s_nop 0
	v_addc_co_u32_e32 v3, vcc, v3, v11, vcc
	v_mad_u64_u32 v[10:11], s[2:3], v6, v3, 0
	v_mov_b32_e32 v13, v4
	v_lshl_add_u64 v[10:11], v[12:13], 0, v[10:11]
	v_mad_u64_u32 v[14:15], s[2:3], v7, v1, 0
	v_add_co_u32_e32 v1, vcc, v10, v14
	v_mad_u64_u32 v[12:13], s[2:3], v7, v3, 0
	s_nop 0
	v_addc_co_u32_e32 v10, vcc, v11, v15, vcc
	v_mov_b32_e32 v11, v4
	s_nop 0
	v_addc_co_u32_e32 v13, vcc, 0, v13, vcc
	v_lshl_add_u64 v[10:11], v[10:11], 0, v[12:13]
	v_mul_lo_u32 v1, s29, v10
	v_mul_lo_u32 v3, s28, v11
	v_mad_u64_u32 v[12:13], s[2:3], s28, v10, 0
	v_add3_u32 v1, v13, v3, v1
	v_sub_u32_e32 v3, v7, v1
	v_mov_b32_e32 v5, s29
	v_sub_co_u32_e32 v16, vcc, v6, v12
	v_lshl_add_u64 v[14:15], v[10:11], 0, 1
	s_nop 0
	v_subb_co_u32_e64 v3, s[2:3], v3, v5, vcc
	v_subrev_co_u32_e64 v5, s[2:3], s28, v16
	v_subb_co_u32_e32 v1, vcc, v7, v1, vcc
	s_nop 0
	v_subbrev_co_u32_e64 v3, s[2:3], 0, v3, s[2:3]
	v_cmp_le_u32_e64 s[2:3], s29, v3
	v_cmp_le_u32_e32 vcc, s29, v1
	s_nop 0
	v_cndmask_b32_e64 v12, 0, -1, s[2:3]
	v_cmp_le_u32_e64 s[2:3], s28, v5
	s_nop 1
	v_cndmask_b32_e64 v5, 0, -1, s[2:3]
	v_cmp_eq_u32_e64 s[2:3], s29, v3
	s_nop 1
	v_cndmask_b32_e64 v3, v12, v5, s[2:3]
	v_lshl_add_u64 v[12:13], v[10:11], 0, 2
	v_cmp_ne_u32_e64 s[2:3], 0, v3
	v_cndmask_b32_e64 v5, 0, -1, vcc
	v_cmp_le_u32_e32 vcc, s28, v16
	v_cndmask_b32_e64 v3, v15, v13, s[2:3]
	s_nop 0
	v_cndmask_b32_e64 v13, 0, -1, vcc
	v_cmp_eq_u32_e32 vcc, s29, v1
	s_nop 1
	v_cndmask_b32_e32 v1, v5, v13, vcc
	v_cmp_ne_u32_e32 vcc, 0, v1
	v_cndmask_b32_e64 v1, v14, v12, s[2:3]
	s_nop 0
	v_cndmask_b32_e32 v11, v11, v3, vcc
	v_cndmask_b32_e32 v10, v10, v1, vcc
.LBB0_4:                                ;   in Loop: Header=BB0_2 Depth=1
	s_andn2_saveexec_b64 s[2:3], s[30:31]
	s_cbranch_execz .LBB0_6
; %bb.5:                                ;   in Loop: Header=BB0_2 Depth=1
	v_cvt_f32_u32_e32 v1, s28
	s_sub_i32 s30, 0, s28
	v_mov_b32_e32 v11, v4
	v_rcp_iflag_f32_e32 v1, v1
	s_nop 0
	v_mul_f32_e32 v1, 0x4f7ffffe, v1
	v_cvt_u32_f32_e32 v1, v1
	v_mul_lo_u32 v3, s30, v1
	v_mul_hi_u32 v3, v1, v3
	v_add_u32_e32 v1, v1, v3
	v_mul_hi_u32 v1, v6, v1
	v_mul_lo_u32 v3, v1, s28
	v_sub_u32_e32 v3, v6, v3
	v_add_u32_e32 v5, 1, v1
	v_subrev_u32_e32 v10, s28, v3
	v_cmp_le_u32_e32 vcc, s28, v3
	s_nop 1
	v_cndmask_b32_e32 v3, v3, v10, vcc
	v_cndmask_b32_e32 v1, v1, v5, vcc
	v_add_u32_e32 v5, 1, v1
	v_cmp_le_u32_e32 vcc, s28, v3
	s_nop 1
	v_cndmask_b32_e32 v10, v1, v5, vcc
.LBB0_6:                                ;   in Loop: Header=BB0_2 Depth=1
	s_or_b64 exec, exec, s[2:3]
	v_mad_u64_u32 v[12:13], s[2:3], v10, s28, 0
	s_load_dwordx2 s[2:3], s[22:23], 0x0
	s_add_u32 s26, s26, 1
	v_mul_lo_u32 v1, v11, s28
	v_mul_lo_u32 v3, v10, s29
	s_load_dwordx2 s[28:29], s[20:21], 0x0
	s_addc_u32 s27, s27, 0
	v_add3_u32 v1, v13, v3, v1
	v_sub_co_u32_e32 v3, vcc, v6, v12
	s_add_u32 s20, s20, 8
	s_nop 0
	v_subb_co_u32_e32 v1, vcc, v7, v1, vcc
	s_addc_u32 s21, s21, 0
	s_waitcnt lgkmcnt(0)
	v_mul_lo_u32 v5, s2, v1
	v_mul_lo_u32 v6, s3, v3
	v_mad_u64_u32 v[54:55], s[2:3], s2, v3, v[54:55]
	s_add_u32 s22, s22, 8
	v_add3_u32 v55, v6, v55, v5
	s_addc_u32 s23, s23, 0
	v_mov_b64_e32 v[6:7], s[6:7]
	v_mul_lo_u32 v1, s28, v1
	v_mul_lo_u32 v5, s29, v3
	v_mad_u64_u32 v[8:9], s[2:3], s28, v3, v[8:9]
	s_add_u32 s24, s24, 8
	v_cmp_ge_u64_e32 vcc, s[26:27], v[6:7]
	v_add3_u32 v9, v5, v9, v1
	s_addc_u32 s25, s25, 0
	s_cbranch_vccnz .LBB0_8
; %bb.7:                                ;   in Loop: Header=BB0_2 Depth=1
	v_mov_b64_e32 v[6:7], v[10:11]
	s_branch .LBB0_2
.LBB0_8:
	s_load_dwordx2 s[0:1], s[0:1], 0x28
	s_lshl_b64 s[20:21], s[6:7], 3
	s_add_u32 s6, s14, s20
	s_addc_u32 s7, s15, s21
                                        ; implicit-def: $vgpr70
                                        ; implicit-def: $vgpr71
                                        ; implicit-def: $vgpr72
	s_waitcnt lgkmcnt(0)
	v_cmp_gt_u64_e32 vcc, s[0:1], v[10:11]
	v_cmp_le_u64_e64 s[0:1], s[0:1], v[10:11]
	s_and_saveexec_b64 s[2:3], s[0:1]
	s_xor_b64 s[0:1], exec, s[2:3]
; %bb.9:
	s_mov_b32 s2, 0x369d037
	v_mul_hi_u32 v1, v0, s2
	v_mul_u32_u24_e32 v1, 0x4b, v1
	v_sub_u32_e32 v70, v0, v1
	v_add_u32_e32 v71, 0x4b, v70
	v_add_u32_e32 v72, 0x96, v70
                                        ; implicit-def: $vgpr0
                                        ; implicit-def: $vgpr54_vgpr55
; %bb.10:
	s_or_saveexec_b64 s[2:3], s[0:1]
	s_load_dwordx2 s[6:7], s[6:7], 0x0
                                        ; implicit-def: $vgpr52
                                        ; implicit-def: $vgpr48
                                        ; implicit-def: $vgpr50
                                        ; implicit-def: $vgpr44
                                        ; implicit-def: $vgpr12
                                        ; implicit-def: $vgpr40
                                        ; implicit-def: $vgpr4
                                        ; implicit-def: $vgpr6
                                        ; implicit-def: $vgpr14
                                        ; implicit-def: $vgpr30
                                        ; implicit-def: $vgpr28
                                        ; implicit-def: $vgpr22
                                        ; implicit-def: $vgpr20
                                        ; implicit-def: $vgpr18
                                        ; implicit-def: $vgpr34
                                        ; implicit-def: $vgpr17
                                        ; implicit-def: $vgpr38
                                        ; implicit-def: $vgpr26
                                        ; implicit-def: $vgpr46
                                        ; implicit-def: $vgpr32
                                        ; implicit-def: $vgpr36
                                        ; implicit-def: $vgpr42
                                        ; implicit-def: $vgpr24
	s_xor_b64 exec, exec, s[2:3]
	s_cbranch_execz .LBB0_14
; %bb.11:
	s_add_u32 s0, s12, s20
	s_addc_u32 s1, s13, s21
	s_load_dwordx2 s[0:1], s[0:1], 0x0
	s_mov_b32 s12, 0x369d037
                                        ; implicit-def: $vgpr29
                                        ; implicit-def: $vgpr31
	s_waitcnt lgkmcnt(0)
	v_mul_lo_u32 v1, s1, v10
	v_mul_lo_u32 v3, s0, v11
	v_mad_u64_u32 v[4:5], s[0:1], s0, v10, 0
	v_add3_u32 v5, v5, v3, v1
	v_mul_hi_u32 v1, v0, s12
	v_mul_u32_u24_e32 v1, 0x4b, v1
	v_sub_u32_e32 v70, v0, v1
	v_mad_u64_u32 v[6:7], s[0:1], s18, v70, 0
	v_mov_b32_e32 v0, v7
	v_mad_u64_u32 v[0:1], s[0:1], s19, v70, v[0:1]
	v_mov_b32_e32 v7, v0
	v_lshl_add_u64 v[0:1], v[4:5], 3, s[8:9]
	v_lshl_add_u64 v[0:1], v[54:55], 3, v[0:1]
	v_add_u32_e32 v3, 0xf0, v70
	v_lshl_add_u64 v[4:5], v[6:7], 3, v[0:1]
	v_mad_u64_u32 v[6:7], s[0:1], s18, v3, 0
	v_mov_b32_e32 v12, v7
	v_mad_u64_u32 v[12:13], s[0:1], s19, v3, v[12:13]
	v_add_u32_e32 v3, 0x1e0, v70
	v_mov_b32_e32 v7, v12
	v_mad_u64_u32 v[12:13], s[0:1], s18, v3, 0
	v_mov_b32_e32 v14, v13
	v_mad_u64_u32 v[14:15], s[0:1], s19, v3, v[14:15]
	v_add_u32_e32 v3, 0x2d0, v70
	v_mov_b32_e32 v13, v14
	v_mad_u64_u32 v[14:15], s[0:1], s18, v3, 0
	v_mov_b32_e32 v16, v15
	v_mad_u64_u32 v[16:17], s[0:1], s19, v3, v[16:17]
	v_mov_b32_e32 v15, v16
	v_add_u32_e32 v3, 0x3c0, v70
	v_lshl_add_u64 v[6:7], v[6:7], 3, v[0:1]
	v_lshl_add_u64 v[12:13], v[12:13], 3, v[0:1]
	v_lshl_add_u64 v[18:19], v[14:15], 3, v[0:1]
	global_load_dwordx2 v[52:53], v[4:5], off
	global_load_dwordx2 v[14:15], v[6:7], off
	;; [unrolled: 1-line block ×4, first 2 shown]
	v_mad_u64_u32 v[4:5], s[0:1], s18, v3, 0
	v_mov_b32_e32 v6, v5
	v_mad_u64_u32 v[6:7], s[0:1], s19, v3, v[6:7]
	v_add_u32_e32 v71, 0x4b, v70
	v_mov_b32_e32 v5, v6
	v_mad_u64_u32 v[6:7], s[0:1], s18, v71, 0
	v_mov_b32_e32 v12, v7
	v_mad_u64_u32 v[12:13], s[0:1], s19, v71, v[12:13]
	v_mov_b32_e32 v7, v12
	v_add_u32_e32 v3, 0x13b, v70
	v_lshl_add_u64 v[12:13], v[6:7], 3, v[0:1]
	v_mad_u64_u32 v[6:7], s[0:1], s18, v3, 0
	v_mov_b32_e32 v18, v7
	v_mad_u64_u32 v[18:19], s[0:1], s19, v3, v[18:19]
	v_mov_b32_e32 v7, v18
	v_add_u32_e32 v3, 0x22b, v70
	v_lshl_add_u64 v[18:19], v[6:7], 3, v[0:1]
	v_mad_u64_u32 v[6:7], s[0:1], s18, v3, 0
	v_mov_b32_e32 v20, v7
	v_mad_u64_u32 v[20:21], s[0:1], s19, v3, v[20:21]
	v_lshl_add_u64 v[4:5], v[4:5], 3, v[0:1]
	v_mov_b32_e32 v7, v20
	v_add_u32_e32 v3, 0x31b, v70
	v_lshl_add_u64 v[20:21], v[6:7], 3, v[0:1]
	global_load_dwordx2 v[38:39], v[4:5], off
	global_load_dwordx2 v[50:51], v[12:13], off
	;; [unrolled: 1-line block ×4, first 2 shown]
	v_mad_u64_u32 v[4:5], s[0:1], s18, v3, 0
	v_mov_b32_e32 v12, v5
	v_mad_u64_u32 v[12:13], s[0:1], s19, v3, v[12:13]
	v_mov_b32_e32 v5, v12
	v_add_u32_e32 v3, 0x40b, v70
	v_lshl_add_u64 v[18:19], v[4:5], 3, v[0:1]
	v_mad_u64_u32 v[4:5], s[0:1], s18, v3, 0
	v_mov_b32_e32 v12, v5
	v_mad_u64_u32 v[12:13], s[0:1], s19, v3, v[12:13]
	v_mov_b32_e32 v5, v12
	v_add_u32_e32 v72, 0x96, v70
	v_lshl_add_u64 v[20:21], v[4:5], 3, v[0:1]
	;; [unrolled: 6-line block ×4, first 2 shown]
	global_load_dwordx2 v[42:43], v[18:19], off
	global_load_dwordx2 v[32:33], v[20:21], off
	;; [unrolled: 1-line block ×4, first 2 shown]
	v_mad_u64_u32 v[18:19], s[0:1], s18, v3, 0
	v_mov_b32_e32 v20, v19
	v_mad_u64_u32 v[20:21], s[0:1], s19, v3, v[20:21]
	v_add_u32_e32 v3, 0x366, v70
	v_mov_b32_e32 v19, v20
	v_mad_u64_u32 v[20:21], s[0:1], s18, v3, 0
	v_mov_b32_e32 v22, v21
	v_mad_u64_u32 v[22:23], s[0:1], s19, v3, v[22:23]
	v_add_u32_e32 v3, 0x456, v70
	v_mov_b32_e32 v21, v22
	v_mad_u64_u32 v[22:23], s[0:1], s18, v3, 0
	v_mov_b32_e32 v24, v23
	v_mad_u64_u32 v[24:25], s[0:1], s19, v3, v[24:25]
	v_lshl_add_u64 v[18:19], v[18:19], 3, v[0:1]
	v_mov_b32_e32 v23, v24
	v_lshl_add_u64 v[20:21], v[20:21], 3, v[0:1]
	v_lshl_add_u64 v[22:23], v[22:23], 3, v[0:1]
	global_load_dwordx2 v[36:37], v[18:19], off
	global_load_dwordx2 v[54:55], v[20:21], off
	;; [unrolled: 1-line block ×3, first 2 shown]
	v_cmp_gt_u32_e64 s[0:1], 15, v70
                                        ; implicit-def: $vgpr19
                                        ; implicit-def: $vgpr21
                                        ; implicit-def: $vgpr23
	s_and_saveexec_b64 s[8:9], s[0:1]
	s_cbranch_execz .LBB0_13
; %bb.12:
	v_add_u32_e32 v3, 0xe1, v70
	v_mad_u64_u32 v[18:19], s[0:1], s18, v3, 0
	v_mov_b32_e32 v20, v19
	v_mad_u64_u32 v[20:21], s[0:1], s19, v3, v[20:21]
	v_mov_b32_e32 v19, v20
	v_add_u32_e32 v3, 0x1d1, v70
	v_lshl_add_u64 v[30:31], v[18:19], 3, v[0:1]
	v_mad_u64_u32 v[18:19], s[0:1], s18, v3, 0
	v_mov_b32_e32 v20, v19
	v_mad_u64_u32 v[20:21], s[0:1], s19, v3, v[20:21]
	v_mov_b32_e32 v19, v20
	v_add_u32_e32 v3, 0x2c1, v70
	v_lshl_add_u64 v[40:41], v[18:19], 3, v[0:1]
	;; [unrolled: 6-line block ×4, first 2 shown]
	global_load_dwordx2 v[18:19], v[30:31], off
	global_load_dwordx2 v[20:21], v[40:41], off
	;; [unrolled: 1-line block ×4, first 2 shown]
	v_mad_u64_u32 v[30:31], s[0:1], s18, v3, 0
	v_mov_b32_e32 v40, v31
	v_mad_u64_u32 v[40:41], s[0:1], s19, v3, v[40:41]
	v_mov_b32_e32 v31, v40
	v_lshl_add_u64 v[0:1], v[30:31], 3, v[0:1]
	global_load_dwordx2 v[30:31], v[0:1], off
.LBB0_13:
	s_or_b64 exec, exec, s[8:9]
	s_waitcnt vmcnt(13)
	v_mov_b32_e32 v48, v15
	s_waitcnt vmcnt(8)
	v_mov_b32_e32 v44, v7
	;; [unrolled: 2-line block ×3, first 2 shown]
	v_mov_b32_e32 v5, v13
	v_mov_b32_e32 v7, v51
	;; [unrolled: 1-line block ×10, first 2 shown]
	s_waitcnt vmcnt(2)
	v_mov_b32_e32 v42, v37
	s_waitcnt vmcnt(1)
	v_mov_b32_e32 v37, v54
	v_mov_b32_e32 v43, v55
	s_waitcnt vmcnt(0)
	v_mov_b32_e32 v41, v25
.LBB0_14:
	s_or_b64 exec, exec, s[2:3]
	s_mov_b32 s0, 0x3f737871
	v_add_f32_e32 v3, v35, v34
	s_mov_b32 s1, 0x3f167918
	v_pk_add_f32 v[0:1], v[48:49], v[16:17] neg_lo:[0,1] neg_hi:[0,1]
	v_mov_b32_e32 v53, v38
	v_fma_f32 v64, -0.5, v3, v52
	v_add_f32_e32 v3, v38, v14
	s_mov_b32 s2, s1
	s_mov_b32 s3, s0
	v_pk_add_f32 v[54:55], v[52:53], v[14:15]
	v_fmac_f32_e32 v52, -0.5, v3
	v_pk_mul_f32 v[56:57], v[0:1], s[2:3]
	v_mov_b32_e32 v53, v46
	v_add_f32_e32 v3, v57, v52
	v_sub_f32_e32 v58, v3, v56
	v_sub_f32_e32 v3, v52, v57
	v_add_f32_e32 v59, v56, v3
	v_mov_b32_e32 v52, v44
	v_mov_b32_e32 v56, v45
	;; [unrolled: 1-line block ×3, first 2 shown]
	v_add_f32_e32 v3, v27, v26
	v_pk_add_f32 v[52:53], v[52:53], v[56:57] neg_lo:[0,1] neg_hi:[0,1]
	v_mov_b32_e32 v51, v32
	v_fma_f32 v65, -0.5, v3, v50
	v_add_f32_e32 v3, v32, v6
	v_pk_add_f32 v[56:57], v[50:51], v[6:7]
	v_fmac_f32_e32 v50, -0.5, v3
	v_pk_mul_f32 v[60:61], v[52:53], s[2:3]
	v_mov_b32_e32 v51, v42
	v_add_f32_e32 v3, v61, v50
	v_sub_f32_e32 v13, v50, v61
	v_sub_f32_e32 v74, v3, v60
	v_add_f32_e32 v75, v60, v13
	v_mov_b32_e32 v50, v40
	v_mov_b32_e32 v60, v41
	;; [unrolled: 1-line block ×3, first 2 shown]
	v_add_f32_e32 v3, v37, v36
	v_pk_add_f32 v[50:51], v[50:51], v[60:61] neg_lo:[0,1] neg_hi:[0,1]
	v_mov_b32_e32 v13, v24
	v_fma_f32 v66, -0.5, v3, v12
	v_add_f32_e32 v3, v24, v4
	v_pk_add_f32 v[60:61], v[12:13], v[4:5]
	v_fmac_f32_e32 v12, -0.5, v3
	v_pk_mul_f32 v[62:63], v[50:51], s[2:3]
	s_mov_b32 s2, 0xaaaaaaab
	v_add_f32_e32 v3, v63, v12
	v_sub_f32_e32 v78, v3, v62
	v_mul_hi_u32 v3, v2, s2
	v_lshrrev_b32_e32 v3, 1, v3
	v_lshl_add_u32 v3, v3, 1, v3
	v_pk_mul_f32 v[0:1], v[0:1], s[0:1]
	v_sub_u32_e32 v73, v2, v3
	v_sub_f32_e32 v2, v64, v0
	v_add_f32_e32 v0, v64, v0
	v_sub_f32_e32 v39, v2, v1
	v_add_f32_e32 v76, v1, v0
	v_pk_add_f32 v[0:1], v[32:33], v[26:27] op_sel_hi:[0,1] neg_lo:[0,1] neg_hi:[0,1]
	v_pk_add_f32 v[2:3], v[38:39], v[34:35] op_sel_hi:[0,1] neg_lo:[0,1] neg_hi:[0,1]
	v_mov_b32_e32 v57, v1
	v_pk_mul_f32 v[0:1], v[52:53], s[0:1]
	v_sub_f32_e32 v12, v12, v63
	v_sub_f32_e32 v2, v65, v0
	v_add_f32_e32 v0, v65, v0
	v_sub_f32_e32 v33, v2, v1
	v_add_f32_e32 v81, v1, v0
	v_pk_add_f32 v[0:1], v[24:25], v[36:37] op_sel_hi:[0,1] neg_lo:[0,1] neg_hi:[0,1]
	v_mov_b32_e32 v61, v1
	v_pk_mul_f32 v[0:1], v[50:51], s[0:1]
	v_add_f32_e32 v79, v62, v12
	v_sub_f32_e32 v2, v66, v0
	v_add_f32_e32 v0, v66, v0
	v_mov_b32_e32 v62, v23
	v_mov_b32_e32 v63, v21
	;; [unrolled: 1-line block ×9, first 2 shown]
	v_sub_f32_e32 v25, v2, v1
	v_add_f32_e32 v82, v1, v0
	v_pk_add_f32 v[0:1], v[68:69], v[66:67]
	v_pk_add_f32 v[2:3], v[62:63], v[64:65] neg_lo:[0,1] neg_hi:[0,1]
	v_pk_fma_f32 v[0:1], -0.5, v[0:1], v[18:19] op_sel_hi:[0,1,0]
	v_pk_mul_f32 v[12:13], v[2:3], s[0:1] op_sel_hi:[1,0]
	v_mov_b32_e32 v52, v30
	v_pk_add_f32 v[50:51], v[0:1], v[12:13] op_sel:[0,1] op_sel_hi:[1,0]
	v_pk_add_f32 v[0:1], v[0:1], v[12:13] op_sel:[0,1] op_sel_hi:[1,0] neg_lo:[0,1] neg_hi:[0,1]
	v_mov_b32_e32 v12, v20
	v_mov_b32_e32 v13, v22
	;; [unrolled: 1-line block ×3, first 2 shown]
	v_pk_add_f32 v[12:13], v[66:67], v[12:13] neg_lo:[0,1] neg_hi:[0,1]
	v_pk_add_f32 v[52:53], v[68:69], v[52:53] neg_lo:[0,1] neg_hi:[0,1]
	s_mov_b32 s0, s1
	v_pk_add_f32 v[12:13], v[52:53], v[12:13]
	v_mov_b32_e32 v52, v0
	v_mov_b32_e32 v53, v51
	;; [unrolled: 1-line block ×3, first 2 shown]
	v_pk_fma_f32 v[0:1], v[2:3], s[0:1], v[52:53] op_sel_hi:[1,0,1] neg_lo:[1,0,0] neg_hi:[1,0,0]
	v_pk_fma_f32 v[2:3], v[2:3], s[0:1], v[50:51] op_sel_hi:[1,0,1]
	s_mov_b32 s0, 0x3e9e377a
	v_pk_mul_f32 v[50:51], v[12:13], s[0:1] op_sel_hi:[1,0]
	v_mov_b32_e32 v53, 0x3e9e377a
	v_pk_add_f32 v[12:13], v[50:51], v[0:1] op_sel:[1,0] op_sel_hi:[0,1]
	v_pk_add_f32 v[0:1], v[14:15], v[34:35] neg_lo:[0,1] neg_hi:[0,1]
	v_mov_b32_e32 v52, v35
	v_mov_b32_e32 v1, v0
	;; [unrolled: 1-line block ×3, first 2 shown]
	v_pk_add_f32 v[0:1], v[54:55], v[0:1]
	v_pk_add_f32 v[2:3], v[50:51], v[2:3] op_sel:[1,0] op_sel_hi:[0,1]
	v_pk_add_f32 v[54:55], v[0:1], v[52:53]
	v_pk_mul_f32 v[0:1], v[0:1], v[52:53]
	v_mul_u32_u24_e32 v50, 0x4b0, v73
	v_mov_b32_e32 v55, v1
	v_add_f32_e32 v51, v1, v76
	v_pk_add_f32 v[0:1], v[54:55], v[38:39]
	v_mad_u32_u24 v39, v70, 20, 0
	v_lshlrev_b32_e32 v77, 2, v50
	v_add_u32_e32 v80, v39, v77
	ds_write2_b32 v80, v0, v1 offset1:1
	v_mov_b32_e32 v0, v14
	v_mov_b32_e32 v1, v38
	v_pk_add_f32 v[0:1], v[34:35], v[0:1] neg_lo:[0,1] neg_hi:[0,1]
	v_mov_b32_e32 v52, v27
	v_add_f32_e32 v0, v0, v1
	v_mul_f32_e32 v0, 0x3e9e377a, v0
	v_pk_add_f32 v[0:1], v[0:1], v[58:59] op_sel_hi:[0,1]
	ds_write2_b32 v80, v0, v1 offset0:2 offset1:3
	v_pk_add_f32 v[0:1], v[6:7], v[26:27] neg_lo:[0,1] neg_hi:[0,1]
	ds_write_b32 v80, v51 offset:16
	v_mov_b32_e32 v1, v0
	v_mov_b32_e32 v0, v26
	v_pk_add_f32 v[0:1], v[56:57], v[0:1]
	v_cmp_lt_u32_e64 s[2:3], 14, v70
	v_pk_add_f32 v[54:55], v[0:1], v[52:53]
	v_pk_mul_f32 v[0:1], v[0:1], v[52:53]
	v_mov_b32_e32 v52, v37
	v_mov_b32_e32 v55, v1
	v_mul_i32_i24_e32 v0, 20, v71
	v_add_f32_e32 v56, v1, v81
	v_add3_u32 v81, 0, v0, v77
	v_pk_add_f32 v[0:1], v[54:55], v[32:33]
	ds_write2_b32 v81, v0, v1 offset1:1
	v_mov_b32_e32 v0, v6
	v_mov_b32_e32 v1, v32
	v_pk_add_f32 v[0:1], v[26:27], v[0:1] neg_lo:[0,1] neg_hi:[0,1]
	ds_write_b32 v81, v56 offset:16
	v_add_f32_e32 v0, v0, v1
	v_mul_f32_e32 v0, 0x3e9e377a, v0
	v_pk_add_f32 v[0:1], v[0:1], v[74:75] op_sel_hi:[0,1]
	ds_write2_b32 v81, v0, v1 offset0:2 offset1:3
	v_pk_add_f32 v[0:1], v[4:5], v[36:37] neg_lo:[0,1] neg_hi:[0,1]
	v_cmp_gt_u32_e64 s[0:1], 15, v70
	v_mov_b32_e32 v1, v0
	v_mov_b32_e32 v0, v36
	v_pk_add_f32 v[0:1], v[60:61], v[0:1]
	s_nop 0
	v_pk_add_f32 v[54:55], v[0:1], v[52:53]
	v_pk_mul_f32 v[0:1], v[0:1], v[52:53]
	s_nop 0
	v_mov_b32_e32 v55, v1
	v_mul_i32_i24_e32 v0, 20, v72
	v_add_f32_e32 v33, v1, v82
	v_add3_u32 v82, 0, v0, v77
	v_pk_add_f32 v[0:1], v[54:55], v[24:25]
	ds_write2_b32 v82, v0, v1 offset1:1
	v_mov_b32_e32 v0, v4
	v_mov_b32_e32 v1, v24
	v_pk_add_f32 v[0:1], v[36:37], v[0:1] neg_lo:[0,1] neg_hi:[0,1]
	s_nop 0
	v_add_f32_e32 v0, v0, v1
	v_mul_f32_e32 v0, 0x3e9e377a, v0
	v_pk_add_f32 v[0:1], v[0:1], v[78:79] op_sel_hi:[0,1]
	ds_write2_b32 v82, v0, v1 offset0:2 offset1:3
	ds_write_b32 v82, v33 offset:16
	v_pk_add_f32 v[0:1], v[20:21], v[18:19]
	s_nop 0
	v_pk_add_f32 v[0:1], v[22:23], v[0:1]
	s_nop 0
	;; [unrolled: 2-line block ×3, first 2 shown]
	v_pk_add_f32 v[0:1], v[30:31], v[0:1]
	s_and_saveexec_b64 s[8:9], s[0:1]
	s_cbranch_execz .LBB0_16
; %bb.15:
	v_lshl_add_u32 v20, v50, 2, v39
	v_add_u32_e32 v22, 0x1198, v20
	ds_write2_b32 v22, v12, v13 offset1:1
	v_add_u32_e32 v22, 0x11a0, v20
	ds_write_b32 v20, v0 offset:4500
	v_mov_b32_e32 v20, v3
	v_mov_b32_e32 v25, v2
	ds_write2_b32 v22, v3, v2 offset1:1
.LBB0_16:
	s_or_b64 exec, exec, s[8:9]
	v_lshlrev_b32_e32 v22, 4, v70
	v_sub_u32_e32 v22, v39, v22
	v_add_u32_e32 v73, v22, v77
	v_add_u32_e32 v22, 0x200, v73
	s_waitcnt lgkmcnt(0)
	s_barrier
	ds_read2_b32 v[60:61], v22 offset0:112 offset1:187
	v_add_u32_e32 v22, 0x400, v73
	ds_read2_b32 v[50:51], v22 offset0:134 offset1:224
	v_add_u32_e32 v22, 0xa00, v73
	;; [unrolled: 2-line block ×3, first 2 shown]
	v_add_u32_e32 v20, 0, v77
	ds_read2_b32 v[52:53], v22 offset0:102 offset1:192
	v_add_u32_e32 v22, 0x800, v73
	v_lshl_add_u32 v74, v70, 2, v20
	ds_read2_b32 v[56:57], v22 offset0:43 offset1:118
	v_add_u32_e32 v22, 0x1000, v73
	v_lshl_add_u32 v75, v71, 2, v20
	ds_read2_b32 v[54:55], v22 offset0:11 offset1:86
	v_lshl_add_u32 v76, v72, 2, v20
	ds_read_b32 v79, v74
	ds_read_b32 v78, v75
	;; [unrolled: 1-line block ×3, first 2 shown]
	s_and_saveexec_b64 s[8:9], s[2:3]
	s_xor_b64 s[8:9], exec, s[8:9]
	s_andn2_saveexec_b64 s[8:9], s[8:9]
	s_cbranch_execz .LBB0_18
; %bb.17:
	v_add_u32_e32 v0, 0x380, v73
	ds_read2_b32 v[84:85], v0 offset0:1 offset1:241
	v_add_u32_e32 v0, 0xb00, v73
	ds_read2_b32 v[86:87], v0 offset0:1 offset1:241
	ds_read_b32 v2, v73 offset:4740
	s_waitcnt lgkmcnt(2)
	v_mov_b32_e32 v12, v85
	s_waitcnt lgkmcnt(1)
	v_mov_b32_e32 v13, v86
	v_mov_b32_e32 v3, v87
	;; [unrolled: 1-line block ×3, first 2 shown]
.LBB0_18:
	s_or_b64 exec, exec, s[8:9]
	v_pk_add_f32 v[84:85], v[48:49], v[16:17]
	v_mov_b32_e32 v86, v48
	v_mul_f32_e32 v87, 0.5, v85
	v_mul_f32_e32 v39, 0.5, v84
	v_pk_add_f32 v[88:89], v[14:15], v[48:49] op_sel:[1,0]
	v_pk_add_f32 v[86:87], v[14:15], v[86:87] op_sel:[1,0] neg_lo:[0,1] neg_hi:[0,1]
	v_mov_b32_e32 v90, v48
	v_mov_b32_e32 v91, v16
	;; [unrolled: 1-line block ×4, first 2 shown]
	v_pk_add_f32 v[14:15], v[14:15], v[38:39] neg_lo:[0,1] neg_hi:[0,1]
	v_sub_f32_e32 v22, v34, v35
	v_mov_b32_e32 v89, v87
	v_pk_add_f32 v[94:95], v[90:91], v[92:93] neg_lo:[0,1] neg_hi:[0,1]
	v_mul_f32_e32 v39, 0x3f737871, v14
	v_mov_b32_e32 v38, v49
	s_mov_b32 s8, 0x3f167918
	v_mul_f32_e32 v35, 0x3f167918, v22
	v_mov_b32_e32 v34, v17
	v_add_f32_e32 v25, v94, v95
	v_pk_add_f32 v[38:39], v[88:89], v[38:39]
	v_mul_f32_e32 v17, 0x3e9e377a, v25
	v_mul_f32_e32 v85, 0x3f737871, v22
	v_pk_add_f32 v[34:35], v[38:39], v[34:35]
	v_mov_b32_e32 v84, 0x3f167918
	v_pk_mul_f32 v[38:39], v[14:15], s[8:9]
	v_pk_add_f32 v[90:91], v[92:93], v[90:91] neg_lo:[0,1] neg_hi:[0,1]
	v_pk_add_f32 v[16:17], v[34:35], v[16:17]
	v_fmamk_f32 v34, v22, 0xbf737871, v15
	v_pk_add_f32 v[48:49], v[14:15], v[84:85]
	v_mov_b32_e32 v35, v38
	v_add_f32_e32 v20, v90, v91
	v_fmac_f32_e32 v87, 0xbf737871, v14
	v_pk_fma_f32 v[14:15], v[14:15], v[84:85], v[34:35]
	v_pk_add_f32 v[34:35], v[48:49], v[34:35] neg_lo:[0,1] neg_hi:[0,1]
	v_mul_f32_e32 v20, 0x3e9e377a, v20
	v_mov_b32_e32 v15, v35
	v_pk_add_f32 v[14:15], v[20:21], v[14:15] op_sel_hi:[0,1]
	v_add_f32_e32 v20, v47, v46
	v_mul_f32_e32 v35, 0.5, v20
	v_add_f32_e32 v20, v45, v44
	v_mov_b32_e32 v34, v44
	v_mul_f32_e32 v33, 0.5, v20
	v_fmac_f32_e32 v87, 0xbf167918, v22
	v_pk_add_f32 v[38:39], v[6:7], v[44:45] op_sel:[1,0]
	v_pk_add_f32 v[34:35], v[6:7], v[34:35] op_sel:[1,0] neg_lo:[0,1] neg_hi:[0,1]
	v_pk_add_f32 v[48:49], v[44:45], v[46:47] neg_lo:[0,1] neg_hi:[0,1]
	v_pk_add_f32 v[6:7], v[6:7], v[32:33] neg_lo:[0,1] neg_hi:[0,1]
	v_fmac_f32_e32 v87, 0x3e9e377a, v25
	v_sub_f32_e32 v22, v26, v27
	v_mov_b32_e32 v39, v35
	v_mov_b32_e32 v26, v47
	v_add_f32_e32 v25, v48, v49
	v_mov_b32_e32 v48, v45
	v_pk_add_f32 v[44:45], v[46:47], v[44:45] neg_lo:[0,1] neg_hi:[0,1]
	v_mul_f32_e32 v47, 0x3f737871, v6
	v_mul_f32_e32 v27, 0x3f167918, v22
	;; [unrolled: 1-line block ×3, first 2 shown]
	v_pk_add_f32 v[32:33], v[38:39], v[46:47]
	v_pk_mul_f32 v[38:39], v[6:7], s[8:9]
	v_add_f32_e32 v20, v44, v45
	v_pk_add_f32 v[26:27], v[32:33], v[26:27]
	v_fmamk_f32 v32, v22, 0xbf737871, v7
	v_pk_add_f32 v[44:45], v[6:7], v[84:85]
	v_mov_b32_e32 v33, v38
	v_fmac_f32_e32 v35, 0xbf737871, v6
	v_pk_fma_f32 v[6:7], v[6:7], v[84:85], v[32:33]
	v_pk_add_f32 v[32:33], v[44:45], v[32:33] neg_lo:[0,1] neg_hi:[0,1]
	v_mul_f32_e32 v20, 0x3e9e377a, v20
	v_mov_b32_e32 v7, v33
	v_fmac_f32_e32 v35, 0xbf167918, v22
	v_pk_add_f32 v[32:33], v[20:21], v[6:7] op_sel_hi:[0,1]
	v_add_f32_e32 v6, v43, v42
	v_add_f32_e32 v20, v41, v40
	v_mul_f32_e32 v49, 0x3e9e377a, v25
	v_fmac_f32_e32 v35, 0x3e9e377a, v25
	v_sub_f32_e32 v22, v36, v37
	v_mul_f32_e32 v37, 0.5, v6
	v_mov_b32_e32 v36, v40
	v_mul_f32_e32 v25, 0.5, v20
	v_pk_add_f32 v[38:39], v[4:5], v[40:41] op_sel:[1,0]
	v_pk_add_f32 v[36:37], v[4:5], v[36:37] op_sel:[1,0] neg_lo:[0,1] neg_hi:[0,1]
	v_pk_add_f32 v[44:45], v[40:41], v[42:43] neg_lo:[0,1] neg_hi:[0,1]
	v_pk_add_f32 v[4:5], v[4:5], v[24:25] neg_lo:[0,1] neg_hi:[0,1]
	v_mov_b32_e32 v39, v37
	v_mov_b32_e32 v6, v43
	v_add_f32_e32 v30, v44, v45
	v_mov_b32_e32 v44, v41
	v_pk_add_f32 v[40:41], v[42:43], v[40:41] neg_lo:[0,1] neg_hi:[0,1]
	v_mul_f32_e32 v43, 0x3f737871, v4
	v_mul_f32_e32 v7, 0x3f167918, v22
	v_pk_add_f32 v[24:25], v[38:39], v[42:43]
	v_mul_f32_e32 v85, 0x3f737871, v22
	v_mul_f32_e32 v45, 0x3e9e377a, v30
	v_pk_add_f32 v[6:7], v[24:25], v[6:7]
	v_pk_mul_f32 v[38:39], v[4:5], s[8:9]
	v_add_f32_e32 v20, v40, v41
	v_pk_add_f32 v[24:25], v[6:7], v[44:45]
	v_fmamk_f32 v6, v22, 0xbf737871, v5
	v_pk_add_f32 v[40:41], v[4:5], v[84:85]
	v_mov_b32_e32 v7, v38
	v_fmac_f32_e32 v37, 0xbf737871, v4
	v_pk_fma_f32 v[4:5], v[4:5], v[84:85], v[6:7]
	v_pk_add_f32 v[6:7], v[40:41], v[6:7] neg_lo:[0,1] neg_hi:[0,1]
	v_mul_f32_e32 v20, 0x3e9e377a, v20
	v_fmac_f32_e32 v37, 0xbf167918, v22
	v_mov_b32_e32 v5, v7
	v_fmac_f32_e32 v37, 0x3e9e377a, v30
	v_pk_add_f32 v[38:39], v[20:21], v[4:5] op_sel_hi:[0,1]
	v_mov_b32_e32 v30, v29
	v_mov_b32_e32 v20, v23
	s_mov_b32 s14, 0x3f737871
	v_pk_add_f32 v[4:5], v[66:67], v[68:69] neg_lo:[0,1] neg_hi:[0,1]
	v_pk_add_f32 v[20:21], v[30:31], v[20:21]
	v_pk_add_f32 v[6:7], v[62:63], v[62:63] op_sel:[1,0] op_sel_hi:[0,1] neg_lo:[0,1] neg_hi:[0,1]
	v_pk_fma_f32 v[18:19], -0.5, v[20:21], v[18:19] op_sel:[0,0,1] op_sel_hi:[0,1,1]
	v_pk_mul_f32 v[20:21], v[4:5], s[14:15] op_sel_hi:[1,0]
	v_pk_add_f32 v[40:41], v[64:65], v[64:65] op_sel:[1,0] op_sel_hi:[0,1] neg_lo:[0,1] neg_hi:[0,1]
	v_pk_add_f32 v[22:23], v[18:19], v[20:21] op_sel:[0,1] op_sel_hi:[1,0] neg_lo:[0,1] neg_hi:[0,1]
	v_pk_add_f32 v[18:19], v[18:19], v[20:21] op_sel:[0,1] op_sel_hi:[1,0]
	v_mov_b32_e32 v21, v23
	v_mov_b32_e32 v20, v18
	;; [unrolled: 1-line block ×3, first 2 shown]
	s_mov_b32 s12, 0x3e9e377a
	v_pk_fma_f32 v[20:21], v[4:5], s[8:9], v[20:21] op_sel_hi:[1,0,1]
	v_pk_add_f32 v[30:31], v[40:41], v[6:7]
	v_pk_fma_f32 v[4:5], v[4:5], s[8:9], v[22:23] op_sel_hi:[1,0,1] neg_lo:[1,0,0] neg_hi:[1,0,0]
	v_pk_fma_f32 v[6:7], v[30:31], s[12:13], v[20:21] op_sel_hi:[1,0,1]
	v_pk_fma_f32 v[4:5], v[30:31], s[12:13], v[4:5] op_sel_hi:[1,0,1]
	v_add_u32_e32 v42, 0xe1, v70
	v_pk_add_f32 v[26:27], v[26:27], v[48:49]
	s_waitcnt lgkmcnt(0)
	s_barrier
	ds_write2_b32 v80, v16, v17 offset1:1
	ds_write2_b32 v80, v14, v15 offset0:2 offset1:3
	ds_write_b32 v80, v87 offset:16
	ds_write2_b32 v81, v26, v27 offset1:1
	ds_write2_b32 v81, v32, v33 offset0:2 offset1:3
	ds_write_b32 v81, v35 offset:16
	ds_write2_b32 v82, v24, v25 offset1:1
	ds_write2_b32 v82, v38, v39 offset0:2 offset1:3
	ds_write_b32 v82, v37 offset:16
	s_and_saveexec_b64 s[8:9], s[0:1]
	s_cbranch_execz .LBB0_20
; %bb.19:
	v_mul_u32_u24_e32 v14, 20, v42
	v_add3_u32 v16, 0, v14, v77
	ds_write_b32 v16, v1
	ds_write2_b32 v16, v6, v7 offset0:1 offset1:2
	ds_write2_b32 v16, v5, v4 offset0:3 offset1:4
.LBB0_20:
	s_or_b64 exec, exec, s[8:9]
	v_add_u32_e32 v14, 0x200, v73
	v_add_u32_e32 v16, 0xa00, v73
	;; [unrolled: 1-line block ×3, first 2 shown]
	s_waitcnt lgkmcnt(0)
	s_barrier
	ds_read2_b32 v[24:25], v14 offset0:112 offset1:187
	v_add_u32_e32 v14, 0x400, v73
	ds_read2_b32 v[22:23], v16 offset0:80 offset1:155
	v_add_u32_e32 v16, 0xc00, v73
	;; [unrolled: 2-line block ×3, first 2 shown]
	ds_read2_b32 v[14:15], v14 offset0:134 offset1:224
	ds_read2_b32 v[16:17], v16 offset0:102 offset1:192
	;; [unrolled: 1-line block ×3, first 2 shown]
	ds_read_b32 v39, v74
	ds_read_b32 v38, v75
	;; [unrolled: 1-line block ×3, first 2 shown]
	s_and_saveexec_b64 s[8:9], s[2:3]
	s_xor_b64 s[2:3], exec, s[8:9]
	s_andn2_saveexec_b64 s[2:3], s[2:3]
	s_cbranch_execz .LBB0_22
; %bb.21:
	v_add_u32_e32 v1, 0x380, v73
	ds_read2_b32 v[26:27], v1 offset0:1 offset1:241
	v_add_u32_e32 v1, 0xb00, v73
	ds_read2_b32 v[30:31], v1 offset0:1 offset1:241
	ds_read_b32 v4, v73 offset:4740
	s_waitcnt lgkmcnt(2)
	v_mov_b32_e32 v6, v27
	s_waitcnt lgkmcnt(1)
	v_mov_b32_e32 v7, v30
	v_mov_b32_e32 v5, v31
	;; [unrolled: 1-line block ×3, first 2 shown]
.LBB0_22:
	s_or_b64 exec, exec, s[2:3]
	s_movk_i32 s3, 0xcd
	v_mul_lo_u16_sdwa v26, v70, s3 dst_sel:DWORD dst_unused:UNUSED_PAD src0_sel:BYTE_0 src1_sel:DWORD
	v_lshrrev_b16_e32 v63, 10, v26
	v_mul_lo_u16_e32 v26, 5, v63
	v_sub_u16_e32 v26, v70, v26
	v_mov_b32_e32 v27, 5
	v_mul_lo_u16_sdwa v30, v71, s3 dst_sel:DWORD dst_unused:UNUSED_PAD src0_sel:BYTE_0 src1_sel:DWORD
	v_lshlrev_b32_sdwa v29, v27, v26 dst_sel:DWORD dst_unused:UNUSED_PAD src0_sel:DWORD src1_sel:BYTE_0
	v_lshrrev_b16_e32 v68, 10, v30
	global_load_dwordx4 v[64:67], v29, s[4:5]
	global_load_dwordx4 v[80:83], v29, s[4:5] offset:16
	v_mul_lo_u16_e32 v29, 5, v68
	v_sub_u16_e32 v29, v71, v29
	v_lshlrev_b32_sdwa v30, v27, v29 dst_sel:DWORD dst_unused:UNUSED_PAD src0_sel:DWORD src1_sel:BYTE_0
	global_load_dwordx4 v[84:87], v30, s[4:5]
	global_load_dwordx4 v[88:91], v30, s[4:5] offset:16
	v_mul_lo_u16_sdwa v30, v72, s3 dst_sel:DWORD dst_unused:UNUSED_PAD src0_sel:BYTE_0 src1_sel:DWORD
	v_lshrrev_b16_e32 v69, 10, v30
	v_mul_lo_u16_e32 v30, 5, v69
	v_sub_u16_e32 v30, v72, v30
	v_lshlrev_b32_sdwa v27, v27, v30 dst_sel:DWORD dst_unused:UNUSED_PAD src0_sel:DWORD src1_sel:BYTE_0
	global_load_dwordx4 v[92:95], v27, s[4:5]
	global_load_dwordx4 v[96:99], v27, s[4:5] offset:16
	s_mov_b32 s2, 0xcccd
	v_mul_u32_u24_sdwa v27, v42, s2 dst_sel:DWORD dst_unused:UNUSED_PAD src0_sel:WORD_0 src1_sel:DWORD
	v_lshrrev_b32_e32 v27, 18, v27
	v_mul_lo_u16_e32 v27, 5, v27
	v_sub_u16_e32 v108, v42, v27
	v_lshlrev_b32_e32 v27, 5, v108
	global_load_dwordx4 v[100:103], v27, s[4:5]
	global_load_dwordx4 v[104:107], v27, s[4:5] offset:16
	v_mov_b32_e32 v31, 2
	v_lshlrev_b32_sdwa v110, v31, v29 dst_sel:DWORD dst_unused:UNUSED_PAD src0_sel:DWORD src1_sel:BYTE_0
	v_lshlrev_b32_sdwa v109, v31, v26 dst_sel:DWORD dst_unused:UNUSED_PAD src0_sel:DWORD src1_sel:BYTE_0
	v_lshlrev_b32_sdwa v111, v31, v30 dst_sel:DWORD dst_unused:UNUSED_PAD src0_sel:DWORD src1_sel:BYTE_0
	s_mov_b32 s12, 0x3f737871
	s_mov_b32 s8, 0x3f167918
	;; [unrolled: 1-line block ×3, first 2 shown]
	s_waitcnt lgkmcnt(0)
	s_barrier
	s_waitcnt vmcnt(7)
	v_mul_f32_e32 v41, v24, v65
	v_mul_f32_e32 v27, v51, v67
	s_waitcnt vmcnt(6)
	v_mul_f32_e32 v48, v22, v81
	v_mul_f32_e32 v29, v58, v81
	;; [unrolled: 1-line block ×4, first 2 shown]
	v_fmac_f32_e32 v41, v60, v64
	v_fma_f32 v47, v15, v66, -v27
	s_waitcnt vmcnt(5)
	v_mul_f32_e32 v15, v56, v87
	v_fmac_f32_e32 v48, v58, v80
	v_fma_f32 v58, v22, v80, -v29
	s_waitcnt vmcnt(3)
	v_mul_f32_e32 v22, v50, v93
	v_mul_f32_e32 v30, v53, v83
	;; [unrolled: 1-line block ×3, first 2 shown]
	v_fma_f32 v46, v24, v64, -v26
	v_fmac_f32_e32 v43, v51, v66
	v_mul_f32_e32 v36, v59, v89
	v_mul_f32_e32 v26, v14, v93
	v_fma_f32 v49, v20, v86, -v15
	s_waitcnt vmcnt(2)
	v_mul_f32_e32 v15, v55, v99
	v_fma_f32 v29, v14, v92, -v22
	v_add_f32_e32 v14, v79, v41
	v_mul_f32_e32 v62, v17, v83
	v_fma_f32 v60, v17, v82, -v30
	v_fma_f32 v45, v25, v84, -v34
	v_mul_f32_e32 v34, v52, v97
	v_fma_f32 v51, v23, v88, -v36
	v_fma_f32 v36, v19, v98, -v15
	v_add_f32_e32 v15, v43, v48
	v_add_f32_e32 v14, v14, v43
	v_mul_f32_e32 v32, v20, v87
	v_fmac_f32_e32 v62, v53, v82
	v_mul_f32_e32 v17, v54, v91
	v_mul_f32_e32 v27, v21, v95
	v_mul_f32_e32 v33, v16, v97
	v_fmac_f32_e32 v26, v50, v92
	v_fma_f32 v34, v16, v96, -v34
	v_sub_f32_e32 v16, v46, v60
	v_fma_f32 v50, -0.5, v15, v79
	v_add_f32_e32 v14, v14, v48
	v_mul_f32_e32 v30, v57, v95
	v_fmac_f32_e32 v32, v56, v86
	v_fma_f32 v53, v18, v90, -v17
	v_fmac_f32_e32 v27, v57, v94
	v_add_f32_e32 v56, v14, v62
	v_fmamk_f32 v57, v16, 0xbf737871, v50
	v_sub_f32_e32 v14, v47, v58
	v_sub_f32_e32 v15, v41, v43
	;; [unrolled: 1-line block ×3, first 2 shown]
	v_fmac_f32_e32 v50, 0x3f737871, v16
	v_fmac_f32_e32 v57, 0xbf167918, v14
	v_add_f32_e32 v15, v15, v17
	v_fmac_f32_e32 v50, 0x3f167918, v14
	v_mul_f32_e32 v31, v25, v85
	v_fmac_f32_e32 v57, 0x3e9e377a, v15
	v_fmac_f32_e32 v50, 0x3e9e377a, v15
	v_add_f32_e32 v15, v41, v62
	v_mul_f32_e32 v40, v23, v89
	v_fmac_f32_e32 v31, v61, v84
	v_fmac_f32_e32 v79, -0.5, v15
	v_fmac_f32_e32 v40, v59, v88
	v_fmamk_f32 v59, v14, 0x3f737871, v79
	v_fmac_f32_e32 v79, 0xbf737871, v14
	v_add_f32_e32 v14, v78, v31
	v_mul_f32_e32 v44, v18, v91
	v_add_f32_e32 v14, v14, v32
	v_fmac_f32_e32 v44, v54, v90
	v_add_f32_e32 v14, v14, v40
	v_sub_f32_e32 v15, v43, v41
	v_sub_f32_e32 v17, v48, v62
	v_add_f32_e32 v61, v14, v44
	v_add_f32_e32 v14, v32, v40
	v_fmac_f32_e32 v59, 0xbf167918, v16
	v_add_f32_e32 v15, v15, v17
	v_fmac_f32_e32 v79, 0x3f167918, v16
	v_fma_f32 v64, -0.5, v14, v78
	v_sub_f32_e32 v14, v45, v53
	v_fmac_f32_e32 v59, 0x3e9e377a, v15
	v_fmac_f32_e32 v79, 0x3e9e377a, v15
	v_fmamk_f32 v65, v14, 0xbf737871, v64
	v_sub_f32_e32 v15, v49, v51
	v_sub_f32_e32 v16, v31, v32
	;; [unrolled: 1-line block ×3, first 2 shown]
	v_fmac_f32_e32 v64, 0x3f737871, v14
	v_fmac_f32_e32 v65, 0xbf167918, v15
	v_add_f32_e32 v16, v16, v17
	v_fmac_f32_e32 v64, 0x3f167918, v15
	v_fmac_f32_e32 v65, 0x3e9e377a, v16
	v_fmac_f32_e32 v64, 0x3e9e377a, v16
	v_add_f32_e32 v16, v31, v44
	v_fmac_f32_e32 v78, -0.5, v16
	v_fmamk_f32 v66, v15, 0x3f737871, v78
	v_fmac_f32_e32 v78, 0xbf737871, v15
	v_fmac_f32_e32 v66, 0xbf167918, v14
	;; [unrolled: 1-line block ×3, first 2 shown]
	v_add_f32_e32 v14, v28, v26
	v_mul_f32_e32 v37, v19, v99
	v_fmac_f32_e32 v33, v52, v96
	v_add_f32_e32 v14, v14, v27
	v_fmac_f32_e32 v37, v55, v98
	v_add_f32_e32 v14, v14, v33
	v_sub_f32_e32 v16, v32, v31
	v_sub_f32_e32 v17, v40, v44
	v_add_f32_e32 v67, v14, v37
	v_add_f32_e32 v14, v27, v33
	v_fma_f32 v30, v21, v94, -v30
	v_add_f32_e32 v16, v16, v17
	v_fma_f32 v80, -0.5, v14, v28
	v_sub_f32_e32 v14, v29, v36
	v_fmac_f32_e32 v66, 0x3e9e377a, v16
	v_fmac_f32_e32 v78, 0x3e9e377a, v16
	v_fmamk_f32 v81, v14, 0xbf737871, v80
	v_sub_f32_e32 v15, v30, v34
	v_sub_f32_e32 v16, v26, v27
	v_sub_f32_e32 v17, v37, v33
	v_fmac_f32_e32 v80, 0x3f737871, v14
	v_fmac_f32_e32 v81, 0xbf167918, v15
	v_add_f32_e32 v16, v16, v17
	v_fmac_f32_e32 v80, 0x3f167918, v15
	v_fmac_f32_e32 v81, 0x3e9e377a, v16
	;; [unrolled: 1-line block ×3, first 2 shown]
	v_add_f32_e32 v16, v26, v37
	v_fmac_f32_e32 v28, -0.5, v16
	v_fmamk_f32 v82, v15, 0x3f737871, v28
	v_sub_f32_e32 v16, v27, v26
	v_sub_f32_e32 v17, v33, v37
	v_fmac_f32_e32 v28, 0xbf737871, v15
	s_waitcnt vmcnt(1)
	v_mov_b32_e32 v24, v101
	v_mov_b32_e32 v25, v102
	v_fmac_f32_e32 v82, 0xbf167918, v14
	v_add_f32_e32 v16, v16, v17
	v_fmac_f32_e32 v28, 0x3f167918, v14
	v_mov_b32_e32 v14, v6
	v_mov_b32_e32 v15, v13
	v_fmac_f32_e32 v82, 0x3e9e377a, v16
	v_fmac_f32_e32 v28, 0x3e9e377a, v16
	v_pk_mul_f32 v[14:15], v[14:15], v[24:25]
	v_mov_b32_e32 v16, v7
	v_mov_b32_e32 v17, v12
	;; [unrolled: 1-line block ×4, first 2 shown]
	v_pk_fma_f32 v[14:15], v[16:17], v[18:19], v[14:15] op_sel:[0,0,1] op_sel_hi:[1,1,0]
	v_mov_b32_e32 v17, v102
	v_mov_b32_e32 v102, v101
	;; [unrolled: 1-line block ×3, first 2 shown]
	v_pk_mul_f32 v[12:13], v[12:13], v[102:103]
	s_nop 0
	v_pk_fma_f32 v[6:7], v[6:7], v[16:17], v[12:13] neg_lo:[0,0,1] neg_hi:[0,0,1]
	s_waitcnt vmcnt(0)
	v_mov_b32_e32 v13, v104
	v_mov_b32_e32 v104, v107
	;; [unrolled: 1-line block ×3, first 2 shown]
	v_pk_mul_f32 v[16:17], v[4:5], v[104:105]
	s_nop 0
	v_pk_fma_f32 v[18:19], v[2:3], v[12:13], v[16:17]
	v_pk_mul_f32 v[2:3], v[2:3], v[104:105]
	v_pk_add_f32 v[54:55], v[18:19], v[18:19] op_sel:[0,1] op_sel_hi:[1,0] neg_lo:[0,1] neg_hi:[0,1]
	v_pk_fma_f32 v[2:3], v[4:5], v[12:13], v[2:3] neg_lo:[0,0,1] neg_hi:[0,0,1]
	v_pk_add_f32 v[4:5], v[14:15], v[18:19] op_sel:[0,1] op_sel_hi:[1,0]
	v_pk_add_f32 v[12:13], v[6:7], v[2:3] neg_lo:[0,1] neg_hi:[0,1]
	v_pk_fma_f32 v[20:21], -0.5, v[4:5], v[0:1] op_sel_hi:[0,1,0]
	v_pk_fma_f32 v[4:5], v[12:13], s[12:13], v[20:21] op_sel_hi:[1,0,1]
	v_pk_fma_f32 v[20:21], v[12:13], s[12:13], v[20:21] op_sel_hi:[1,0,1] neg_lo:[1,0,0] neg_hi:[1,0,0]
	v_pk_mul_f32 v[22:23], v[12:13], s[8:9] op_sel_hi:[1,0]
	s_movk_i32 s9, 0x64
	v_mov_b32_e32 v24, v20
	v_mov_b32_e32 v25, v5
	v_mad_u32_u24 v5, v63, s9, 0
	v_pk_add_f32 v[12:13], v[24:25], v[22:23] op_sel:[0,1] op_sel_hi:[1,0] neg_lo:[0,1] neg_hi:[0,1]
	v_pk_add_f32 v[24:25], v[14:15], v[14:15] op_sel:[1,0] op_sel_hi:[0,1] neg_lo:[0,1] neg_hi:[0,1]
	v_add3_u32 v52, v5, v109, v77
	v_mad_u32_u24 v5, v68, s9, 0
	v_pk_add_f32 v[24:25], v[24:25], v[54:55]
	v_add3_u32 v54, v5, v110, v77
	v_mad_u32_u24 v5, v69, s9, 0
	v_mov_b32_e32 v16, v19
	v_mov_b32_e32 v17, v18
	v_pk_fma_f32 v[12:13], v[24:25], s[2:3], v[12:13] op_sel_hi:[1,0,1]
	ds_write2_b32 v52, v56, v57 offset1:5
	ds_write2_b32 v52, v59, v79 offset0:10 offset1:15
	ds_write_b32 v52, v50 offset:80
	v_add3_u32 v55, v5, v111, v77
	v_lshlrev_b32_e32 v50, 2, v108
	ds_write2_b32 v54, v61, v65 offset1:5
	ds_write2_b32 v54, v66, v78 offset0:10 offset1:15
	ds_write_b32 v54, v64 offset:80
	ds_write2_b32 v55, v67, v81 offset1:5
	ds_write2_b32 v55, v82, v28 offset0:10 offset1:15
	ds_write_b32 v55, v80 offset:80
	s_and_saveexec_b64 s[14:15], s[0:1]
	s_cbranch_execz .LBB0_24
; %bb.23:
	v_add_f32_e32 v0, v0, v15
	v_add_f32_e32 v0, v0, v14
	;; [unrolled: 1-line block ×4, first 2 shown]
	v_mul_lo_u16_sdwa v18, v42, s3 dst_sel:DWORD dst_unused:UNUSED_PAD src0_sel:BYTE_0 src1_sel:DWORD
	v_lshrrev_b16_e32 v18, 10, v18
	v_mov_b32_e32 v20, v23
	v_mov_b32_e32 v5, v22
	v_mad_u32_u24 v18, v18, s9, 0
	v_pk_mul_f32 v[22:23], v[24:25], s[2:3] op_sel_hi:[1,0]
	v_add_f32_e32 v5, v5, v21
	v_add_f32_e32 v4, v20, v4
	v_add3_u32 v18, v18, v50, v77
	v_add_f32_e32 v5, v23, v5
	v_add_f32_e32 v4, v22, v4
	ds_write2_b32 v18, v0, v12 offset1:5
	ds_write2_b32 v18, v13, v5 offset0:10 offset1:15
	ds_write_b32 v18, v4 offset:80
.LBB0_24:
	s_or_b64 exec, exec, s[14:15]
	v_add_f32_e32 v0, v39, v46
	v_add_f32_e32 v0, v0, v47
	;; [unrolled: 1-line block ×5, first 2 shown]
	v_fma_f32 v57, -0.5, v0, v39
	v_sub_f32_e32 v0, v41, v62
	v_fmamk_f32 v59, v0, 0x3f737871, v57
	v_sub_f32_e32 v4, v43, v48
	v_sub_f32_e32 v5, v46, v47
	;; [unrolled: 1-line block ×3, first 2 shown]
	v_fmac_f32_e32 v57, 0xbf737871, v0
	v_fmac_f32_e32 v59, 0x3f167918, v4
	v_add_f32_e32 v5, v5, v18
	v_fmac_f32_e32 v57, 0xbf167918, v4
	v_fmac_f32_e32 v59, 0x3e9e377a, v5
	v_fmac_f32_e32 v57, 0x3e9e377a, v5
	v_add_f32_e32 v5, v46, v60
	v_fmac_f32_e32 v39, -0.5, v5
	v_fmamk_f32 v48, v4, 0xbf737871, v39
	v_fmac_f32_e32 v39, 0x3f737871, v4
	v_fmac_f32_e32 v48, 0x3f167918, v0
	;; [unrolled: 1-line block ×3, first 2 shown]
	v_add_f32_e32 v0, v38, v45
	v_add_f32_e32 v0, v0, v49
	;; [unrolled: 1-line block ×3, first 2 shown]
	v_sub_f32_e32 v5, v47, v46
	v_sub_f32_e32 v18, v58, v60
	v_add_f32_e32 v47, v0, v53
	v_add_f32_e32 v0, v49, v51
	;; [unrolled: 1-line block ×3, first 2 shown]
	v_fma_f32 v58, -0.5, v0, v38
	v_sub_f32_e32 v0, v31, v44
	v_fmac_f32_e32 v48, 0x3e9e377a, v5
	v_fmac_f32_e32 v39, 0x3e9e377a, v5
	v_fmamk_f32 v60, v0, 0x3f737871, v58
	v_sub_f32_e32 v4, v32, v40
	v_sub_f32_e32 v5, v45, v49
	;; [unrolled: 1-line block ×3, first 2 shown]
	v_fmac_f32_e32 v58, 0xbf737871, v0
	v_fmac_f32_e32 v60, 0x3f167918, v4
	v_add_f32_e32 v5, v5, v18
	v_fmac_f32_e32 v58, 0xbf167918, v4
	v_fmac_f32_e32 v60, 0x3e9e377a, v5
	;; [unrolled: 1-line block ×3, first 2 shown]
	v_add_f32_e32 v5, v45, v53
	v_fmac_f32_e32 v38, -0.5, v5
	v_fmamk_f32 v61, v4, 0xbf737871, v38
	v_fmac_f32_e32 v38, 0x3f737871, v4
	v_fmac_f32_e32 v61, 0x3f167918, v0
	;; [unrolled: 1-line block ×3, first 2 shown]
	v_add_f32_e32 v0, v35, v29
	v_add_f32_e32 v0, v0, v30
	;; [unrolled: 1-line block ×3, first 2 shown]
	v_sub_f32_e32 v5, v49, v45
	v_sub_f32_e32 v18, v51, v53
	v_add_f32_e32 v49, v0, v36
	v_add_f32_e32 v0, v30, v34
	;; [unrolled: 1-line block ×3, first 2 shown]
	v_fma_f32 v51, -0.5, v0, v35
	v_sub_f32_e32 v0, v26, v37
	v_fmac_f32_e32 v61, 0x3e9e377a, v5
	v_fmac_f32_e32 v38, 0x3e9e377a, v5
	v_fmamk_f32 v53, v0, 0x3f737871, v51
	v_sub_f32_e32 v4, v27, v33
	v_sub_f32_e32 v5, v29, v30
	;; [unrolled: 1-line block ×3, first 2 shown]
	v_fmac_f32_e32 v51, 0xbf737871, v0
	v_fmac_f32_e32 v53, 0x3f167918, v4
	v_add_f32_e32 v5, v5, v18
	v_fmac_f32_e32 v51, 0xbf167918, v4
	v_fmac_f32_e32 v53, 0x3e9e377a, v5
	;; [unrolled: 1-line block ×3, first 2 shown]
	v_add_f32_e32 v5, v29, v36
	v_fmac_f32_e32 v35, -0.5, v5
	v_fmamk_f32 v62, v4, 0xbf737871, v35
	v_sub_f32_e32 v5, v30, v29
	v_sub_f32_e32 v18, v34, v36
	v_fmac_f32_e32 v35, 0x3f737871, v4
	v_fmac_f32_e32 v62, 0x3f167918, v0
	v_add_f32_e32 v5, v5, v18
	v_fmac_f32_e32 v35, 0xbf167918, v0
	v_fmac_f32_e32 v62, 0x3e9e377a, v5
	;; [unrolled: 1-line block ×3, first 2 shown]
	v_pk_add_f32 v[4:5], v[6:7], v[2:3]
	v_mov_b32_e32 v0, v1
	v_pk_add_f32 v[24:25], v[14:15], v[16:17] neg_lo:[0,1] neg_hi:[0,1]
	v_pk_fma_f32 v[4:5], -0.5, v[4:5], v[0:1] op_sel_hi:[0,1,0]
	v_lshlrev_b32_e32 v0, 2, v70
	v_pk_mul_f32 v[14:15], v[24:25], s[12:13] op_sel_hi:[1,0]
	v_pk_add_f32 v[16:17], v[6:7], v[6:7] op_sel:[0,1] op_sel_hi:[1,0] neg_lo:[0,1] neg_hi:[0,1]
	v_pk_add_f32 v[18:19], v[2:3], v[2:3] op_sel:[0,1] op_sel_hi:[1,0] neg_lo:[0,1] neg_hi:[0,1]
	v_add3_u32 v43, 0, v0, v77
	v_pk_add_f32 v[20:21], v[4:5], v[14:15] op_sel:[1,1] op_sel_hi:[0,0] neg_lo:[0,1] neg_hi:[0,1]
	v_pk_add_f32 v[36:37], v[16:17], v[18:19]
	v_add_u32_e32 v44, 0x200, v43
	v_add_u32_e32 v17, 0x400, v43
	;; [unrolled: 1-line block ×5, first 2 shown]
	v_pk_add_f32 v[4:5], v[4:5], v[14:15] op_sel:[1,1] op_sel_hi:[0,0]
	v_mov_b32_e32 v15, v21
	s_waitcnt lgkmcnt(0)
	s_barrier
	ds_read2_b32 v[30:31], v44 offset0:97 offset1:172
	ds_read2_b32 v[32:33], v17 offset0:119 offset1:194
	;; [unrolled: 1-line block ×6, first 2 shown]
	ds_read_b32 v16, v74
	ds_read_b32 v40, v75
	;; [unrolled: 1-line block ×3, first 2 shown]
	ds_read_b32 v21, v43 offset:4500
	v_mov_b32_e32 v14, v4
	v_pk_fma_f32 v[14:15], v[24:25], s[8:9], v[14:15] op_sel_hi:[1,0,1]
	s_waitcnt lgkmcnt(0)
	v_pk_fma_f32 v[14:15], v[36:37], s[2:3], v[14:15] op_sel_hi:[1,0,1]
	s_barrier
	ds_write2_b32 v52, v56, v59 offset1:5
	ds_write2_b32 v52, v48, v39 offset0:10 offset1:15
	ds_write_b32 v52, v57 offset:80
	ds_write2_b32 v54, v47, v60 offset1:5
	ds_write2_b32 v54, v61, v38 offset0:10 offset1:15
	ds_write_b32 v54, v58 offset:80
	;; [unrolled: 3-line block ×3, first 2 shown]
	s_and_saveexec_b64 s[12:13], s[0:1]
	s_cbranch_execz .LBB0_26
; %bb.25:
	v_add_f32_e32 v0, v1, v6
	v_add_f32_e32 v0, v0, v7
	s_movk_i32 s0, 0xcd
	v_add_f32_e32 v0, v0, v3
	v_mul_lo_u16_sdwa v3, v42, s0 dst_sel:DWORD dst_unused:UNUSED_PAD src0_sel:BYTE_0 src1_sel:DWORD
	v_lshrrev_b16_e32 v3, 10, v3
	s_movk_i32 s0, 0x64
	v_pk_mul_f32 v[24:25], v[24:25], s[8:9] op_sel_hi:[1,0]
	v_mad_u32_u24 v3, v3, s0, 0
	v_pk_mul_f32 v[36:37], v[36:37], s[2:3] op_sel_hi:[1,0]
	v_add_f32_e32 v0, v0, v2
	v_sub_f32_e32 v1, v20, v24
	v_sub_f32_e32 v2, v5, v25
	v_add3_u32 v3, v3, v50, v77
	v_add_f32_e32 v1, v36, v1
	v_add_f32_e32 v2, v37, v2
	ds_write2_b32 v3, v0, v14 offset1:5
	ds_write2_b32 v3, v15, v2 offset0:10 offset1:15
	ds_write_b32 v3, v1 offset:80
.LBB0_26:
	s_or_b64 exec, exec, s[12:13]
	v_mov_b32_e32 v0, 41
	v_mul_lo_u16_sdwa v0, v70, v0 dst_sel:DWORD dst_unused:UNUSED_PAD src0_sel:BYTE_0 src1_sel:DWORD
	v_lshrrev_b16_e32 v67, 10, v0
	v_mul_lo_u16_e32 v0, 25, v67
	v_sub_u16_e32 v108, v70, v0
	v_mov_b32_e32 v0, 15
	v_mul_u32_u24_sdwa v0, v108, v0 dst_sel:DWORD dst_unused:UNUSED_PAD src0_sel:BYTE_0 src1_sel:DWORD
	v_lshlrev_b32_e32 v20, 3, v0
	s_waitcnt lgkmcnt(0)
	s_barrier
	global_load_dwordx4 v[36:39], v20, s[4:5] offset:160
	global_load_dwordx4 v[48:51], v20, s[4:5] offset:176
	;; [unrolled: 1-line block ×3, first 2 shown]
	global_load_dwordx3 v[4:6], v20, s[4:5] offset:208
	global_load_dwordx4 v[0:3], v20, s[4:5] offset:220
	global_load_dwordx4 v[56:59], v20, s[4:5] offset:252
	;; [unrolled: 1-line block ×3, first 2 shown]
	ds_read_b32 v7, v74
	ds_read_b32 v109, v75
	;; [unrolled: 1-line block ×3, first 2 shown]
	ds_read2_b32 v[78:79], v44 offset0:97 offset1:172
	ds_read2_b32 v[80:81], v17 offset0:119 offset1:194
	;; [unrolled: 1-line block ×6, first 2 shown]
	ds_read_b32 v41, v43 offset:4500
	global_load_dwordx3 v[64:66], v20, s[4:5] offset:268
	v_mov_b32_e32 v90, v33
	s_waitcnt lgkmcnt(6)
	v_mov_b32_e32 v35, v78
	s_waitcnt lgkmcnt(4)
	v_mov_b32_e32 v91, v24
	v_mov_b32_e32 v101, v24
	;; [unrolled: 1-line block ×14, first 2 shown]
	s_waitcnt lgkmcnt(3)
	v_mov_b32_e32 v97, v82
	v_mov_b32_e32 v94, v25
	s_mov_b32 s0, 0x3f3504f3
	s_waitcnt lgkmcnt(0)
	s_barrier
	v_cmp_lt_u32_e64 s[2:3], 24, v70
	s_waitcnt vmcnt(7)
	v_mov_b32_e32 v102, v39
	s_waitcnt vmcnt(6)
	v_mov_b32_e32 v103, v48
	v_mul_f32_e32 v17, v109, v37
	v_mul_f32_e32 v20, v40, v37
	;; [unrolled: 1-line block ×3, first 2 shown]
	v_mov_b32_e32 v105, v48
	v_mov_b32_e32 v48, v39
	s_waitcnt vmcnt(5)
	v_mul_f32_e32 v45, v80, v53
	v_mov_b32_e32 v39, v49
	s_waitcnt vmcnt(4)
	v_mov_b32_e32 v107, v4
	v_mov_b32_e32 v4, v54
	;; [unrolled: 1-line block ×4, first 2 shown]
	v_fmac_f32_e32 v17, v40, v36
	v_fma_f32 v109, v109, v36, -v20
	v_fmac_f32_e32 v24, v31, v50
	v_pk_mul_f32 v[36:37], v[34:35], v[38:39]
	v_mov_b32_e32 v35, v30
	v_fmac_f32_e32 v45, v32, v52
	v_mov_b32_e32 v52, v51
	v_pk_mul_f32 v[30:31], v[90:91], v[4:5]
	v_mov_b32_e32 v80, v50
	v_pk_mul_f32 v[32:33], v[34:35], v[48:49]
	v_pk_fma_f32 v[34:35], v[88:89], v[106:107], v[30:31]
	v_pk_mul_f32 v[30:31], v[86:87], v[52:53]
	v_mov_b32_e32 v50, v29
	v_mov_b32_e32 v51, v84
	s_waitcnt vmcnt(3)
	v_mov_b32_e32 v52, v3
	s_waitcnt vmcnt(1)
	v_mov_b32_e32 v53, v62
	v_mul_f32_e32 v28, v28, v2
	v_mov_b32_e32 v48, v83
	v_mov_b32_e32 v49, v26
	v_pk_mul_f32 v[50:51], v[50:51], v[52:53]
	v_mov_b32_e32 v4, v55
	v_mov_b32_e32 v39, v2
	v_fma_f32 v55, v82, v1, -v28
	v_pk_fma_f32 v[48:49], v[48:49], v[60:61], v[50:51]
	v_mov_b32_e32 v2, v3
	v_mov_b32_e32 v3, v61
	;; [unrolled: 1-line block ×5, first 2 shown]
	v_mul_f32_e32 v22, v85, v56
	v_mul_f32_e32 v79, v46, v58
	v_mov_b32_e32 v50, v83
	v_mov_b32_e32 v51, v84
	v_pk_mul_f32 v[28:29], v[28:29], v[60:61]
	v_fmac_f32_e32 v22, v27, v63
	v_fmac_f32_e32 v79, v18, v57
	v_pk_fma_f32 v[2:3], v[50:51], v[2:3], v[28:29] neg_lo:[0,0,1] neg_hi:[0,0,1]
	v_mov_b32_e32 v51, v57
	v_mov_b32_e32 v26, v27
	;; [unrolled: 1-line block ×7, first 2 shown]
	v_pk_mul_f32 v[26:27], v[26:27], v[56:57]
	v_mov_b32_e32 v104, v38
	v_mov_b32_e32 v38, v6
	v_pk_fma_f32 v[26:27], v[28:29], v[50:51], v[26:27] neg_lo:[0,0,1] neg_hi:[0,0,1]
	v_mov_b32_e32 v40, v19
	v_mov_b32_e32 v28, v59
	s_waitcnt vmcnt(0)
	v_mov_b32_e32 v29, v66
	v_pk_mul_f32 v[38:39], v[96:97], v[38:39]
	v_mov_b32_e32 v20, v47
	v_pk_mul_f32 v[28:29], v[40:41], v[28:29]
	v_pk_fma_f32 v[38:39], v[94:95], v[0:1], v[38:39]
	v_pk_fma_f32 v[50:51], v[20:21], v[64:65], v[28:29]
	v_mov_b32_e32 v29, v65
	v_mov_b32_e32 v20, v19
	;; [unrolled: 1-line block ×4, first 2 shown]
	v_sub_f32_e32 v22, v24, v22
	v_pk_mul_f32 v[4:5], v[92:93], v[4:5]
	v_mov_b32_e32 v40, v47
	v_mov_b32_e32 v28, v59
	v_pk_mul_f32 v[18:19], v[20:21], v[64:65]
	v_pk_add_f32 v[20:21], v[16:17], v[38:39] neg_lo:[0,1] neg_hi:[0,1]
	v_pk_fma_f32 v[36:37], v[68:69], v[102:103], v[36:37]
	v_mov_b32_e32 v69, v78
	v_fma_f32 v24, v24, 2.0, -v22
	v_pk_fma_f32 v[30:31], v[98:99], v[80:81], v[30:31] neg_lo:[0,0,1] neg_hi:[0,0,1]
	v_pk_fma_f32 v[4:5], v[100:101], v[106:107], v[4:5] neg_lo:[0,0,1] neg_hi:[0,0,1]
	;; [unrolled: 1-line block ×3, first 2 shown]
	v_fma_f32 v16, v16, 2.0, -v20
	v_sub_f32_e32 v54, v45, v79
	v_pk_fma_f32 v[32:33], v[68:69], v[104:105], v[32:33] neg_lo:[0,0,1] neg_hi:[0,0,1]
	v_pk_add_f32 v[28:29], v[30:31], v[26:27] neg_lo:[0,1] neg_hi:[0,1]
	v_pk_add_f32 v[26:27], v[36:37], v[48:49] neg_lo:[0,1] neg_hi:[0,1]
	;; [unrolled: 1-line block ×4, first 2 shown]
	v_sub_f32_e32 v24, v16, v24
	v_fma_f32 v45, v45, 2.0, -v54
	v_pk_add_f32 v[38:39], v[32:33], v[2:3] neg_lo:[0,1] neg_hi:[0,1]
	v_fma_f32 v46, v17, 2.0, -v21
	v_fma_f32 v37, v37, 2.0, -v27
	;; [unrolled: 1-line block ×4, first 2 shown]
	v_pk_add_f32 v[16:17], v[26:27], v[18:19]
	v_fma_f32 v36, v36, 2.0, -v26
	v_fma_f32 v1, v32, 2.0, -v38
	;; [unrolled: 1-line block ×4, first 2 shown]
	v_sub_f32_e32 v34, v109, v55
	v_fma_f32 v49, v5, 2.0, -v19
	v_pk_add_f32 v[4:5], v[20:21], v[28:29]
	v_fma_f32 v51, v26, 2.0, -v16
	v_sub_f32_e32 v26, v46, v45
	v_sub_f32_e32 v35, v37, v35
	v_fma_f32 v47, v109, 2.0, -v34
	v_fma_f32 v48, v31, 2.0, -v29
	;; [unrolled: 1-line block ×4, first 2 shown]
	v_pk_add_f32 v[18:19], v[38:39], v[40:41] neg_lo:[0,1] neg_hi:[0,1]
	v_fma_f32 v46, v46, 2.0, -v26
	v_sub_f32_e32 v53, v34, v54
	v_fma_f32 v21, v21, 2.0, -v5
	v_fma_f32 v45, v37, 2.0, -v35
	;; [unrolled: 1-line block ×3, first 2 shown]
	v_sub_f32_e32 v3, v36, v2
	v_sub_f32_e32 v31, v1, v32
	v_fma_f32 v52, v38, 2.0, -v18
	v_sub_f32_e32 v38, v47, v48
	v_fma_f32 v34, v34, 2.0, -v53
	;; [unrolled: 2-line block ×3, first 2 shown]
	v_fmamk_f32 v59, v51, 0xbf3504f3, v20
	v_pk_mul_f32 v[40:41], v[16:17], s[0:1] op_sel_hi:[1,0]
	v_pk_fma_f32 v[16:17], v[16:17], s[0:1], v[4:5] op_sel_hi:[1,0,1]
	v_sub_f32_e32 v45, v46, v45
	v_fmamk_f32 v39, v27, 0xbf3504f3, v21
	v_fma_f32 v2, v36, 2.0, -v3
	v_fma_f32 v29, v47, 2.0, -v38
	;; [unrolled: 1-line block ×3, first 2 shown]
	v_fmac_f32_e32 v59, 0x3f3504f3, v52
	v_add_f32_e32 v60, v24, v31
	v_pk_mul_f32 v[36:37], v[18:19], s[0:1] op_sel_hi:[1,0]
	v_pk_fma_f32 v[32:33], v[18:19], s[0:1], v[16:17] op_sel_hi:[1,0,1]
	v_fma_f32 v16, v46, 2.0, -v45
	v_fmamk_f32 v46, v48, 0xbf3504f3, v34
	v_fmac_f32_e32 v39, 0x3f3504f3, v48
	v_add_f32_e32 v55, v26, v54
	v_sub_f32_e32 v2, v50, v2
	v_fma_f32 v20, v20, 2.0, -v59
	v_fma_f32 v24, v24, 2.0, -v60
	v_fmac_f32_e32 v46, 0xbf3504f3, v27
	v_fma_f32 v48, v21, 2.0, -v39
	v_sub_f32_e32 v54, v38, v35
	v_fma_f32 v56, v26, 2.0, -v55
	v_add_f32_e32 v17, v53, v37
	v_fma_f32 v58, v50, 2.0, -v2
	v_fma_f32 v49, v34, 2.0, -v46
	;; [unrolled: 1-line block ×3, first 2 shown]
	v_sub_f32_e32 v37, v17, v41
	v_fmamk_f32 v17, v48, 0xbf6c835e, v20
	v_fmamk_f32 v19, v56, 0xbf3504f3, v24
	v_fma_f32 v4, v4, 2.0, -v32
	v_sub_f32_e32 v47, v29, v47
	v_fma_f32 v41, v5, 2.0, -v33
	v_sub_f32_e32 v5, v58, v16
	v_fmac_f32_e32 v17, 0x3ec3ef15, v49
	v_fmac_f32_e32 v19, 0x3f3504f3, v57
	v_fma_f32 v50, v53, 2.0, -v37
	v_fma_f32 v16, v58, 2.0, -v5
	;; [unrolled: 1-line block ×4, first 2 shown]
	v_fmamk_f32 v21, v41, 0xbec3ef15, v4
	v_add_f32_e32 v24, v2, v47
	s_movk_i32 s0, 0x640
	v_mov_b32_e32 v58, 2
	v_fmac_f32_e32 v21, 0x3f6c835e, v50
	v_fma_f32 v26, v2, 2.0, -v24
	v_fmamk_f32 v27, v39, 0x3ec3ef15, v59
	v_fmamk_f32 v35, v55, 0x3f3504f3, v60
	;; [unrolled: 1-line block ×3, first 2 shown]
	v_mad_u32_u24 v53, v67, s0, 0
	v_lshlrev_b32_sdwa v58, v58, v108 dst_sel:DWORD dst_unused:UNUSED_PAD src0_sel:DWORD src1_sel:BYTE_0
	v_fma_f32 v4, v4, 2.0, -v21
	v_fmac_f32_e32 v27, 0x3f6c835e, v46
	v_fmac_f32_e32 v35, 0x3f3504f3, v54
	;; [unrolled: 1-line block ×3, first 2 shown]
	v_add3_u32 v53, v53, v58, v77
	v_fma_f32 v34, v59, 2.0, -v27
	v_fma_f32 v38, v60, 2.0, -v35
	v_fma_f32 v32, v32, 2.0, -v2
	ds_write2_b32 v53, v16, v18 offset1:25
	ds_write2_b32 v53, v20, v4 offset0:50 offset1:75
	ds_write2_b32 v53, v26, v34 offset0:100 offset1:125
	;; [unrolled: 1-line block ×4, first 2 shown]
	v_add_u32_e32 v4, 0x200, v53
	ds_write2_b32 v4, v19, v21 offset0:122 offset1:147
	v_add_u32_e32 v4, 0x400, v53
	ds_write2_b32 v4, v24, v27 offset0:44 offset1:69
	ds_write2_b32 v4, v35, v2 offset0:94 offset1:119
	v_add_u32_e32 v4, 0x400, v73
	s_waitcnt lgkmcnt(0)
	s_barrier
	ds_read2_b32 v[34:35], v4 offset0:144 offset1:219
	v_add_u32_e32 v4, 0xa00, v73
	v_add_u32_e32 v16, 0xc00, v73
	ds_read2_b32 v[4:5], v4 offset0:60 offset1:160
	ds_read2_b32 v[26:27], v16 offset0:107 offset1:182
	ds_read_b32 v38, v74
	ds_read_b32 v32, v75
	;; [unrolled: 1-line block ×3, first 2 shown]
	v_add_u32_e32 v16, 0x800, v73
	v_add_u32_e32 v18, 0x1000, v73
	ds_read2_b32 v[20:21], v16 offset0:38 offset1:113
	ds_read2_b32 v[16:17], v44 offset0:97 offset1:172
	;; [unrolled: 1-line block ×3, first 2 shown]
	v_cmp_gt_u32_e64 s[0:1], 25, v70
	s_and_saveexec_b64 s[8:9], s[2:3]
	s_xor_b64 s[8:9], exec, s[8:9]
	s_or_saveexec_b64 s[8:9], s[8:9]
	v_mul_f32_e32 v58, 0x3f3504f3, v51
	v_mul_f32_e32 v59, 0x3f3504f3, v52
	;; [unrolled: 1-line block ×6, first 2 shown]
	s_xor_b64 exec, exec, s[8:9]
	s_cbranch_execz .LBB0_28
; %bb.27:
	ds_read_b32 v2, v43 offset:1500
	ds_read_b32 v12, v73 offset:3100
	;; [unrolled: 1-line block ×3, first 2 shown]
.LBB0_28:
	s_or_b64 exec, exec, s[8:9]
	v_mul_f32_e32 v0, v23, v0
	v_fma_f32 v0, v25, v6, -v0
	v_sub_f32_e32 v0, v7, v0
	v_sub_f32_e32 v22, v0, v22
	v_fma_f32 v6, v7, 2.0, -v0
	v_fma_f32 v0, v0, 2.0, -v22
	;; [unrolled: 1-line block ×3, first 2 shown]
	v_sub_f32_e32 v23, v0, v59
	v_sub_f32_e32 v7, v6, v7
	;; [unrolled: 1-line block ×3, first 2 shown]
	v_add_f32_e32 v25, v22, v36
	v_fma_f32 v6, v6, 2.0, -v7
	v_fma_f32 v1, v1, 2.0, -v31
	v_sub_f32_e32 v3, v7, v3
	v_sub_f32_e32 v25, v25, v40
	v_fmamk_f32 v40, v46, 0x3ec3ef15, v23
	v_sub_f32_e32 v1, v6, v1
	v_fma_f32 v0, v0, 2.0, -v23
	v_fma_f32 v22, v22, 2.0, -v25
	v_fmac_f32_e32 v40, 0xbf6c835e, v39
	v_add_f32_e32 v39, v3, v51
	v_fma_f32 v6, v6, 2.0, -v1
	v_fma_f32 v7, v7, 2.0, -v3
	;; [unrolled: 1-line block ×3, first 2 shown]
	v_fmamk_f32 v29, v49, 0xbf6c835e, v0
	v_fmamk_f32 v31, v50, 0xbec3ef15, v22
	v_sub_f32_e32 v39, v39, v44
	v_sub_f32_e32 v28, v6, v28
	v_fmac_f32_e32 v29, 0xbec3ef15, v48
	v_sub_f32_e32 v30, v7, v56
	v_fmac_f32_e32 v31, 0xbf6c835e, v41
	v_fma_f32 v41, v3, 2.0, -v39
	v_fmamk_f32 v3, v37, 0x3f6c835e, v25
	v_fma_f32 v6, v6, 2.0, -v28
	v_fma_f32 v0, v0, 2.0, -v29
	v_sub_f32_e32 v30, v30, v52
	v_sub_f32_e32 v36, v1, v45
	v_fmac_f32_e32 v3, 0xbec3ef15, v33
	v_fma_f32 v7, v7, 2.0, -v30
	v_fma_f32 v22, v22, 2.0, -v31
	;; [unrolled: 1-line block ×5, first 2 shown]
	s_waitcnt lgkmcnt(0)
	s_barrier
	ds_write2_b32 v53, v6, v0 offset1:25
	ds_write2_b32 v53, v7, v22 offset0:50 offset1:75
	ds_write2_b32 v53, v1, v23 offset0:100 offset1:125
	;; [unrolled: 1-line block ×4, first 2 shown]
	v_add_u32_e32 v0, 0x200, v53
	ds_write2_b32 v0, v30, v31 offset0:122 offset1:147
	v_add_u32_e32 v0, 0x400, v53
	ds_write2_b32 v0, v36, v40 offset0:44 offset1:69
	ds_write2_b32 v0, v39, v3 offset0:94 offset1:119
	v_add_u32_e32 v0, 0x400, v73
	s_waitcnt lgkmcnt(0)
	s_barrier
	ds_read2_b32 v[40:41], v0 offset0:144 offset1:219
	v_add_u32_e32 v0, 0xa00, v73
	ds_read2_b32 v[6:7], v0 offset0:60 offset1:160
	v_add_u32_e32 v0, 0xc00, v73
	ds_read2_b32 v[36:37], v0 offset0:107 offset1:182
	ds_read_b32 v39, v74
	ds_read_b32 v33, v75
	;; [unrolled: 1-line block ×3, first 2 shown]
	v_add_u32_e32 v0, 0x800, v73
	ds_read2_b32 v[30:31], v0 offset0:38 offset1:113
	v_add_u32_e32 v0, 0x200, v43
	v_add_u32_e32 v22, 0x1000, v73
	ds_read2_b32 v[0:1], v0 offset0:97 offset1:172
	ds_read2_b32 v[22:23], v22 offset0:1 offset1:76
	s_and_saveexec_b64 s[8:9], s[2:3]
	s_xor_b64 s[2:3], exec, s[8:9]
	s_cbranch_execnz .LBB0_32
; %bb.29:
	s_andn2_saveexec_b64 s[2:3], s[2:3]
	s_cbranch_execnz .LBB0_33
.LBB0_30:
	s_or_b64 exec, exec, s[2:3]
	s_and_saveexec_b64 s[2:3], vcc
	s_cbranch_execnz .LBB0_34
.LBB0_31:
	s_endpgm
.LBB0_32:
                                        ; implicit-def: $vgpr43
                                        ; implicit-def: $vgpr73
	s_andn2_saveexec_b64 s[2:3], s[2:3]
	s_cbranch_execz .LBB0_30
.LBB0_33:
	ds_read_b32 v3, v43 offset:1500
	ds_read_b32 v14, v73 offset:3100
	ds_read_b32 v15, v73 offset:4700
	s_or_b64 exec, exec, s[2:3]
	s_and_saveexec_b64 s[2:3], vcc
	s_cbranch_execz .LBB0_31
.LBB0_34:
	v_mov_b32_e32 v29, 0
	v_lshlrev_b32_e32 v48, 1, v70
	v_mov_b32_e32 v49, v29
	v_lshl_add_u64 v[44:45], v[48:49], 3, s[4:5]
	global_load_dwordx4 v[44:47], v[44:45], off offset:3160
	v_mul_lo_u32 v28, s7, v10
	v_mul_lo_u32 v11, s6, v11
	v_mad_u64_u32 v[52:53], s[2:3], s6, v10, 0
	v_add3_u32 v53, v53, v11, v28
	v_add_u32_e32 v28, 0x258, v48
	v_lshl_add_u64 v[10:11], v[28:29], 3, s[4:5]
	v_lshlrev_b32_e32 v28, 1, v42
	v_lshl_add_u64 v[42:43], v[28:29], 3, s[4:5]
	v_lshlrev_b32_e32 v28, 1, v72
	;; [unrolled: 2-line block ×3, first 2 shown]
	v_lshl_add_u64 v[48:49], v[28:29], 3, s[4:5]
	global_load_dwordx4 v[48:51], v[48:49], off offset:3160
	s_mov_b32 s6, 0x51eb851f
	v_mov_b32_e32 v58, v5
	v_mov_b32_e32 v60, v5
	v_add_u32_e32 v5, 0x4b, v70
	v_mul_hi_u32 v57, v5, s6
	v_lshl_add_u64 v[52:53], v[52:53], 3, s[10:11]
	v_lshrrev_b32_e32 v28, 7, v57
	v_lshl_add_u64 v[8:9], v[8:9], 3, v[52:53]
	v_mul_u32_u24_e32 v52, 0x190, v28
	v_sub_u32_e32 v5, v5, v52
	global_load_dwordx4 v[52:55], v[54:55], off offset:3160
	s_waitcnt lgkmcnt(7)
	v_mov_b32_e32 v56, v7
	v_mul_hi_u32 v7, v70, s6
	v_lshrrev_b32_e32 v7, 7, v7
	v_mul_u32_u24_e32 v7, 0x190, v7
	v_sub_u32_e32 v7, v70, v7
	s_movk_i32 s7, 0x4b0
	v_mad_u64_u32 v[62:63], s[8:9], s16, v7, 0
	v_add_u32_e32 v57, 0x190, v7
	v_add_u32_e32 v59, 0x320, v7
	v_mad_u32_u24 v5, v28, s7, v5
	v_mov_b32_e32 v28, v63
	v_mad_u64_u32 v[64:65], s[8:9], s16, v57, 0
	v_mad_u64_u32 v[66:67], s[8:9], s16, v59, 0
	;; [unrolled: 1-line block ×3, first 2 shown]
	v_mov_b32_e32 v28, v65
	v_mov_b32_e32 v74, v67
	;; [unrolled: 1-line block ×3, first 2 shown]
	v_mad_u64_u32 v[72:73], s[8:9], s17, v57, v[28:29]
	v_mad_u64_u32 v[74:75], s[8:9], s17, v59, v[74:75]
	v_mov_b32_e32 v65, v72
	v_mov_b32_e32 v67, v74
	s_movk_i32 s3, 0x190
	s_mov_b32 s2, 0x3f5db3d7
	v_add_u32_e32 v7, 0x190, v5
	v_mad_u64_u32 v[68:69], s[8:9], s16, v5, 0
	v_mov_b32_e32 v76, v69
	v_lshl_add_u64 v[62:63], v[62:63], 3, v[8:9]
	v_lshl_add_u64 v[64:65], v[64:65], 3, v[8:9]
	v_mad_u64_u32 v[76:77], s[8:9], s17, v5, v[76:77]
	v_lshl_add_u64 v[66:67], v[66:67], 3, v[8:9]
	v_add_u32_e32 v5, 0x320, v5
	v_mov_b32_e32 v69, v76
	v_lshl_add_u64 v[68:69], v[68:69], 3, v[8:9]
	s_waitcnt vmcnt(2)
	v_pk_mul_f32 v[72:73], v[40:41], v[44:45] op_sel_hi:[0,1]
	v_pk_mul_f32 v[56:57], v[56:57], v[46:47] op_sel_hi:[0,1]
	v_pk_fma_f32 v[74:75], v[34:35], v[44:45], v[72:73] op_sel:[0,0,1] op_sel_hi:[1,1,0]
	v_pk_fma_f32 v[44:45], v[34:35], v[44:45], v[72:73] op_sel:[0,0,1] op_sel_hi:[0,1,0] neg_lo:[1,0,0] neg_hi:[1,0,0]
	v_pk_fma_f32 v[58:59], v[58:59], v[46:47], v[56:57] op_sel:[0,0,1] op_sel_hi:[1,1,0]
	v_pk_fma_f32 v[46:47], v[60:61], v[46:47], v[56:57] op_sel:[0,0,1] op_sel_hi:[0,1,0] neg_lo:[1,0,0] neg_hi:[1,0,0]
	v_mov_b32_e32 v75, v45
	v_mov_b32_e32 v59, v47
	v_pk_add_f32 v[44:45], v[74:75], v[58:59]
	v_pk_add_f32 v[46:47], v[74:75], v[58:59] neg_lo:[0,1] neg_hi:[0,1]
	s_waitcnt lgkmcnt(5)
	v_pk_add_f32 v[56:57], v[38:39], v[74:75]
	v_pk_fma_f32 v[38:39], v[44:45], 0.5, v[38:39] op_sel_hi:[1,0,1] neg_lo:[1,0,0] neg_hi:[1,0,0]
	v_pk_mul_f32 v[44:45], v[46:47], s[2:3] op_sel_hi:[1,0]
	v_pk_add_f32 v[46:47], v[56:57], v[58:59]
	v_pk_add_f32 v[56:57], v[38:39], v[44:45] op_sel:[0,1] op_sel_hi:[1,0]
	v_pk_add_f32 v[38:39], v[38:39], v[44:45] op_sel:[0,1] op_sel_hi:[1,0] neg_lo:[0,1] neg_hi:[0,1]
	v_mov_b32_e32 v45, v57
	v_mov_b32_e32 v44, v38
	v_mov_b32_e32 v57, v39
	v_mad_u64_u32 v[38:39], s[8:9], s16, v7, 0
	v_mov_b32_e32 v28, v39
	global_store_dwordx2 v[62:63], v[46:47], off
	global_store_dwordx2 v[64:65], v[44:45], off
	;; [unrolled: 1-line block ×3, first 2 shown]
	v_mad_u64_u32 v[44:45], s[8:9], s17, v7, v[28:29]
	v_mov_b32_e32 v39, v44
	v_mad_u64_u32 v[44:45], s[8:9], s16, v5, 0
	v_mov_b32_e32 v28, v45
	;; [unrolled: 2-line block ×3, first 2 shown]
	s_waitcnt vmcnt(4)
	v_pk_mul_f32 v[40:41], v[28:29], v[48:49] op_sel_hi:[0,1]
	v_mov_b32_e32 v28, v35
	v_mov_b32_e32 v45, v46
	v_pk_fma_f32 v[46:47], v[28:29], v[48:49], v[40:41] op_sel:[0,0,1] op_sel_hi:[1,1,0]
	v_pk_fma_f32 v[34:35], v[28:29], v[48:49], v[40:41] op_sel:[0,0,1] op_sel_hi:[0,1,0] neg_lo:[1,0,0] neg_hi:[1,0,0]
	v_mov_b32_e32 v47, v35
	v_pk_mul_f32 v[34:35], v[36:37], v[50:51] op_sel_hi:[0,1]
	v_pk_fma_f32 v[40:41], v[26:27], v[50:51], v[34:35] op_sel:[0,0,1] op_sel_hi:[1,1,0]
	v_pk_fma_f32 v[34:35], v[26:27], v[50:51], v[34:35] op_sel:[0,0,1] op_sel_hi:[0,1,0] neg_lo:[1,0,0] neg_hi:[1,0,0]
	v_add_u32_e32 v5, 0x96, v70
	v_mov_b32_e32 v41, v35
	v_mul_hi_u32 v7, v5, s6
	v_pk_add_f32 v[34:35], v[46:47], v[40:41]
	v_pk_add_f32 v[48:49], v[46:47], v[40:41] neg_lo:[0,1] neg_hi:[0,1]
	v_lshrrev_b32_e32 v7, 7, v7
	s_waitcnt lgkmcnt(4)
	v_pk_fma_f32 v[34:35], v[34:35], 0.5, v[32:33] op_sel_hi:[1,0,1] neg_lo:[1,0,0] neg_hi:[1,0,0]
	v_pk_mul_f32 v[48:49], v[48:49], s[2:3] op_sel_hi:[1,0]
	v_pk_add_f32 v[32:33], v[32:33], v[46:47]
	v_mul_u32_u24_e32 v26, 0x190, v7
	v_pk_add_f32 v[50:51], v[34:35], v[48:49] op_sel:[0,1] op_sel_hi:[1,0]
	v_pk_add_f32 v[34:35], v[34:35], v[48:49] op_sel:[0,1] op_sel_hi:[1,0] neg_lo:[0,1] neg_hi:[0,1]
	v_pk_add_f32 v[32:33], v[32:33], v[40:41]
	v_sub_u32_e32 v5, v5, v26
	v_lshl_add_u64 v[38:39], v[38:39], 3, v[8:9]
	global_store_dwordx2 v[68:69], v[32:33], off
	v_mov_b32_e32 v32, v34
	v_mov_b32_e32 v33, v51
	v_mad_u32_u24 v5, v7, s7, v5
	global_store_dwordx2 v[38:39], v[32:33], off
	v_mad_u64_u32 v[38:39], s[8:9], s16, v5, 0
	v_mov_b32_e32 v51, v35
	global_load_dwordx4 v[32:35], v[42:43], off offset:3160
	v_mov_b32_e32 v26, v39
	v_mad_u64_u32 v[40:41], s[8:9], s17, v5, v[26:27]
	v_add_u32_e32 v7, 0x190, v5
	v_mov_b32_e32 v39, v40
	v_mad_u64_u32 v[40:41], s[8:9], s16, v7, 0
	v_mov_b32_e32 v26, v41
	v_mad_u64_u32 v[42:43], s[8:9], s17, v7, v[26:27]
	v_add_u32_e32 v5, 0x320, v5
	v_mov_b32_e32 v41, v42
	v_mad_u64_u32 v[42:43], s[8:9], s16, v5, 0
	v_lshl_add_u64 v[44:45], v[44:45], 3, v[8:9]
	v_mov_b32_e32 v26, v43
	global_store_dwordx2 v[44:45], v[50:51], off
	v_mad_u64_u32 v[44:45], s[8:9], s17, v5, v[26:27]
	v_mov_b32_e32 v43, v44
	s_waitcnt vmcnt(7) lgkmcnt(2)
	v_pk_mul_f32 v[44:45], v[30:31], v[52:53] op_sel_hi:[0,1]
	v_pk_fma_f32 v[46:47], v[20:21], v[52:53], v[44:45] op_sel:[0,0,1] op_sel_hi:[1,1,0]
	v_pk_fma_f32 v[44:45], v[20:21], v[52:53], v[44:45] op_sel:[0,0,1] op_sel_hi:[0,1,0] neg_lo:[1,0,0] neg_hi:[1,0,0]
	v_mov_b32_e32 v20, v37
	v_pk_mul_f32 v[36:37], v[20:21], v[54:55] op_sel_hi:[0,1]
	v_mov_b32_e32 v20, v27
	v_mov_b32_e32 v47, v45
	v_pk_fma_f32 v[44:45], v[20:21], v[54:55], v[36:37] op_sel:[0,0,1] op_sel_hi:[1,1,0]
	v_pk_fma_f32 v[26:27], v[20:21], v[54:55], v[36:37] op_sel:[0,0,1] op_sel_hi:[0,1,0] neg_lo:[1,0,0] neg_hi:[1,0,0]
	v_mov_b32_e32 v45, v27
	v_pk_add_f32 v[26:27], v[46:47], v[44:45]
	v_pk_add_f32 v[36:37], v[46:47], v[44:45] neg_lo:[0,1] neg_hi:[0,1]
	v_pk_fma_f32 v[26:27], v[26:27], 0.5, v[24:25] op_sel_hi:[1,0,1] neg_lo:[1,0,0] neg_hi:[1,0,0]
	v_pk_mul_f32 v[36:37], v[36:37], s[2:3] op_sel_hi:[1,0]
	v_pk_add_f32 v[24:25], v[24:25], v[46:47]
	v_lshl_add_u64 v[38:39], v[38:39], 3, v[8:9]
	v_pk_add_f32 v[48:49], v[26:27], v[36:37] op_sel:[0,1] op_sel_hi:[1,0]
	v_pk_add_f32 v[26:27], v[26:27], v[36:37] op_sel:[0,1] op_sel_hi:[1,0] neg_lo:[0,1] neg_hi:[0,1]
	v_pk_add_f32 v[24:25], v[24:25], v[44:45]
	v_lshl_add_u64 v[40:41], v[40:41], 3, v[8:9]
	global_store_dwordx2 v[38:39], v[24:25], off
	v_mov_b32_e32 v24, v26
	v_mov_b32_e32 v25, v49
	global_store_dwordx2 v[40:41], v[24:25], off
	v_mov_b32_e32 v49, v27
	global_load_dwordx4 v[24:27], v[10:11], off offset:3160
	v_add_u32_e32 v5, 0xe1, v70
	v_mul_hi_u32 v7, v5, s6
	v_lshrrev_b32_e32 v7, 7, v7
	v_mul_u32_u24_e32 v20, 0x190, v7
	v_sub_u32_e32 v5, v5, v20
	v_mad_u32_u24 v5, v7, s7, v5
	v_mad_u64_u32 v[10:11], s[8:9], s16, v5, 0
	v_mov_b32_e32 v20, v11
	v_mad_u64_u32 v[36:37], s[8:9], s17, v5, v[20:21]
	v_add_u32_e32 v7, 0x190, v5
	v_mov_b32_e32 v11, v36
	v_mad_u64_u32 v[36:37], s[8:9], s16, v7, 0
	v_mov_b32_e32 v20, v37
	v_mad_u64_u32 v[38:39], s[8:9], s17, v7, v[20:21]
	v_add_u32_e32 v5, 0x320, v5
	v_mov_b32_e32 v37, v38
	v_mad_u64_u32 v[38:39], s[8:9], s16, v5, 0
	v_mov_b32_e32 v20, v39
	v_mad_u64_u32 v[40:41], s[8:9], s17, v5, v[20:21]
	v_mov_b32_e32 v20, v31
	v_mov_b32_e32 v39, v40
	v_lshl_add_u64 v[42:43], v[42:43], 3, v[8:9]
	global_store_dwordx2 v[42:43], v[48:49], off
	v_lshl_add_u64 v[10:11], v[10:11], 3, v[8:9]
	v_lshl_add_u64 v[36:37], v[36:37], 3, v[8:9]
	;; [unrolled: 1-line block ×3, first 2 shown]
	s_waitcnt vmcnt(5)
	v_pk_mul_f32 v[30:31], v[20:21], v[32:33] op_sel_hi:[0,1]
	v_mov_b32_e32 v20, v21
	v_pk_fma_f32 v[40:41], v[20:21], v[32:33], v[30:31] op_sel:[0,0,1] op_sel_hi:[1,1,0]
	v_pk_fma_f32 v[20:21], v[20:21], v[32:33], v[30:31] op_sel:[0,0,1] op_sel_hi:[0,1,0] neg_lo:[1,0,0] neg_hi:[1,0,0]
	v_mov_b32_e32 v41, v21
	s_waitcnt lgkmcnt(0)
	v_pk_mul_f32 v[20:21], v[22:23], v[34:35] op_sel_hi:[0,1]
	v_pk_fma_f32 v[30:31], v[18:19], v[34:35], v[20:21] op_sel:[0,0,1] op_sel_hi:[1,1,0]
	v_pk_fma_f32 v[20:21], v[18:19], v[34:35], v[20:21] op_sel:[0,0,1] op_sel_hi:[0,1,0] neg_lo:[1,0,0] neg_hi:[1,0,0]
	v_mov_b32_e32 v33, v0
	v_add_u32_e32 v0, 0x12c, v70
	v_mov_b32_e32 v31, v21
	v_mul_hi_u32 v5, v0, s6
	v_pk_add_f32 v[20:21], v[40:41], v[30:31]
	v_mov_b32_e32 v32, v16
	v_pk_add_f32 v[34:35], v[40:41], v[30:31] neg_lo:[0,1] neg_hi:[0,1]
	v_lshrrev_b32_e32 v5, 7, v5
	v_pk_fma_f32 v[20:21], v[20:21], 0.5, v[32:33] op_sel_hi:[1,0,1] neg_lo:[1,0,0] neg_hi:[1,0,0]
	v_pk_mul_f32 v[34:35], v[34:35], s[2:3] op_sel_hi:[1,0]
	v_pk_add_f32 v[32:33], v[32:33], v[40:41]
	v_mul_u32_u24_e32 v7, 0x190, v5
	v_pk_add_f32 v[42:43], v[20:21], v[34:35] op_sel:[0,1] op_sel_hi:[1,0]
	v_pk_add_f32 v[20:21], v[20:21], v[34:35] op_sel:[0,1] op_sel_hi:[1,0] neg_lo:[0,1] neg_hi:[0,1]
	v_pk_add_f32 v[30:31], v[32:33], v[30:31]
	v_sub_u32_e32 v0, v0, v7
	global_store_dwordx2 v[10:11], v[30:31], off
	v_mov_b32_e32 v10, v20
	v_mov_b32_e32 v11, v43
	v_mad_u32_u24 v5, v5, s7, v0
	global_store_dwordx2 v[36:37], v[10:11], off
	v_mad_u64_u32 v[10:11], s[6:7], s16, v5, 0
	v_mov_b32_e32 v0, v11
	v_mov_b32_e32 v43, v21
	v_mad_u64_u32 v[20:21], s[6:7], s17, v5, v[0:1]
	v_add_u32_e32 v7, 0x190, v5
	v_mov_b32_e32 v11, v20
	v_mad_u64_u32 v[20:21], s[6:7], s16, v7, 0
	v_mov_b32_e32 v0, v21
	v_mad_u64_u32 v[30:31], s[6:7], s17, v7, v[0:1]
	v_add_u32_e32 v5, 0x320, v5
	v_mov_b32_e32 v21, v30
	v_mad_u64_u32 v[30:31], s[6:7], s16, v5, 0
	v_mov_b32_e32 v0, v31
	v_mad_u64_u32 v[32:33], s[6:7], s17, v5, v[0:1]
	s_waitcnt vmcnt(3)
	v_pk_mul_f32 v[6:7], v[6:7], v[24:25] op_sel_hi:[0,1]
	v_mov_b32_e32 v31, v32
	v_pk_fma_f32 v[32:33], v[4:5], v[24:25], v[6:7] op_sel:[0,0,1] op_sel_hi:[1,1,0]
	v_pk_fma_f32 v[4:5], v[4:5], v[24:25], v[6:7] op_sel:[0,0,1] op_sel_hi:[0,1,0] neg_lo:[1,0,0] neg_hi:[1,0,0]
	v_mov_b32_e32 v0, v23
	v_mov_b32_e32 v33, v5
	v_pk_mul_f32 v[4:5], v[0:1], v[26:27] op_sel_hi:[0,1]
	v_mov_b32_e32 v0, v19
	v_pk_fma_f32 v[6:7], v[0:1], v[26:27], v[4:5] op_sel:[0,0,1] op_sel_hi:[1,1,0]
	v_pk_fma_f32 v[4:5], v[0:1], v[26:27], v[4:5] op_sel:[0,0,1] op_sel_hi:[0,1,0] neg_lo:[1,0,0] neg_hi:[1,0,0]
	v_mov_b32_e32 v7, v5
	v_pk_add_f32 v[4:5], v[32:33], v[6:7]
	v_mov_b32_e32 v0, v17
	v_pk_add_f32 v[16:17], v[32:33], v[6:7] neg_lo:[0,1] neg_hi:[0,1]
	v_pk_fma_f32 v[4:5], v[4:5], 0.5, v[0:1] op_sel_hi:[1,0,1] neg_lo:[1,0,0] neg_hi:[1,0,0]
	v_pk_mul_f32 v[16:17], v[16:17], s[2:3] op_sel_hi:[1,0]
	v_pk_add_f32 v[0:1], v[0:1], v[32:33]
	v_lshl_add_u64 v[10:11], v[10:11], 3, v[8:9]
	v_pk_add_f32 v[18:19], v[4:5], v[16:17] op_sel:[0,1] op_sel_hi:[1,0]
	v_pk_add_f32 v[4:5], v[4:5], v[16:17] op_sel:[0,1] op_sel_hi:[1,0] neg_lo:[0,1] neg_hi:[0,1]
	v_pk_add_f32 v[0:1], v[0:1], v[6:7]
	global_store_dwordx2 v[38:39], v[42:43], off
	v_lshl_add_u64 v[20:21], v[20:21], 3, v[8:9]
	global_store_dwordx2 v[10:11], v[0:1], off
	v_mov_b32_e32 v0, v4
	v_mov_b32_e32 v1, v19
	global_store_dwordx2 v[20:21], v[0:1], off
	v_add_u32_e32 v0, 0x177, v70
	v_lshl_add_u64 v[30:31], v[30:31], 3, v[8:9]
	v_mov_b32_e32 v19, v5
	v_cmp_gt_u32_e32 vcc, s3, v0
	global_store_dwordx2 v[30:31], v[18:19], off
	s_and_b64 exec, exec, vcc
	s_cbranch_execz .LBB0_31
; %bb.35:
	v_not_b32_e32 v1, 24
	v_mov_b32_e32 v4, 0x177
	v_cndmask_b32_e64 v1, v1, v4, s[0:1]
	v_add_lshl_u32 v28, v70, v1, 1
	v_lshl_add_u64 v[4:5], v[28:29], 3, s[4:5]
	global_load_dwordx4 v[4:7], v[4:5], off offset:3160
	v_mad_u64_u32 v[10:11], s[0:1], s16, v0, 0
	v_add_u32_e32 v17, 0x307, v70
	v_add_u32_e32 v23, 0x497, v70
	v_mov_b32_e32 v16, v11
	v_mad_u64_u32 v[18:19], s[0:1], s16, v17, 0
	v_mad_u64_u32 v[20:21], s[0:1], s16, v23, 0
	;; [unrolled: 1-line block ×3, first 2 shown]
	v_mov_b32_e32 v16, v19
	v_mov_b32_e32 v22, v21
	v_mov_b32_e32 v11, v0
	v_mad_u64_u32 v[0:1], s[0:1], s17, v17, v[16:17]
	v_mad_u64_u32 v[16:17], s[0:1], s17, v23, v[22:23]
	v_mov_b32_e32 v19, v0
	v_mov_b32_e32 v21, v16
	v_lshl_add_u64 v[0:1], v[18:19], 3, v[8:9]
	v_lshl_add_u64 v[10:11], v[10:11], 3, v[8:9]
	;; [unrolled: 1-line block ×3, first 2 shown]
	s_waitcnt vmcnt(0)
	v_pk_mul_f32 v[16:17], v[14:15], v[4:5] op_sel_hi:[0,1]
	v_pk_mul_f32 v[14:15], v[14:15], v[6:7] op_sel:[1,0]
	v_pk_fma_f32 v[18:19], v[12:13], v[4:5], v[16:17] op_sel:[0,0,1] op_sel_hi:[1,1,0]
	v_pk_fma_f32 v[4:5], v[12:13], v[4:5], v[16:17] op_sel:[0,0,1] op_sel_hi:[0,1,0] neg_lo:[1,0,0] neg_hi:[1,0,0]
	v_pk_fma_f32 v[16:17], v[12:13], v[6:7], v[14:15] op_sel:[1,0,1] op_sel_hi:[1,1,0]
	v_pk_fma_f32 v[6:7], v[12:13], v[6:7], v[14:15] op_sel:[1,0,1] op_sel_hi:[1,1,0] neg_lo:[1,0,0] neg_hi:[1,0,0]
	v_mov_b32_e32 v19, v5
	v_mov_b32_e32 v17, v7
	v_pk_add_f32 v[4:5], v[18:19], v[16:17]
	v_pk_add_f32 v[6:7], v[18:19], v[16:17] neg_lo:[0,1] neg_hi:[0,1]
	v_pk_add_f32 v[12:13], v[2:3], v[18:19]
	v_pk_fma_f32 v[2:3], -0.5, v[4:5], v[2:3] op_sel_hi:[0,1,1]
	v_pk_mul_f32 v[4:5], v[6:7], s[2:3] op_sel_hi:[1,0]
	v_pk_add_f32 v[6:7], v[12:13], v[16:17]
	v_pk_add_f32 v[12:13], v[2:3], v[4:5] op_sel:[0,1] op_sel_hi:[1,0] neg_lo:[0,1] neg_hi:[0,1]
	v_pk_add_f32 v[2:3], v[2:3], v[4:5] op_sel:[0,1] op_sel_hi:[1,0]
	v_mov_b32_e32 v4, v12
	v_mov_b32_e32 v5, v3
	global_store_dwordx2 v[10:11], v[6:7], off
	v_mov_b32_e32 v3, v13
	global_store_dwordx2 v[0:1], v[4:5], off
	global_store_dwordx2 v[8:9], v[2:3], off
	s_endpgm
	.section	.rodata,"a",@progbits
	.p2align	6, 0x0
	.amdhsa_kernel fft_rtc_back_len1200_factors_5_5_16_3_wgs_225_tpt_75_halfLds_sp_op_CI_CI_sbrr_dirReg
		.amdhsa_group_segment_fixed_size 0
		.amdhsa_private_segment_fixed_size 0
		.amdhsa_kernarg_size 104
		.amdhsa_user_sgpr_count 2
		.amdhsa_user_sgpr_dispatch_ptr 0
		.amdhsa_user_sgpr_queue_ptr 0
		.amdhsa_user_sgpr_kernarg_segment_ptr 1
		.amdhsa_user_sgpr_dispatch_id 0
		.amdhsa_user_sgpr_kernarg_preload_length 0
		.amdhsa_user_sgpr_kernarg_preload_offset 0
		.amdhsa_user_sgpr_private_segment_size 0
		.amdhsa_uses_dynamic_stack 0
		.amdhsa_enable_private_segment 0
		.amdhsa_system_sgpr_workgroup_id_x 1
		.amdhsa_system_sgpr_workgroup_id_y 0
		.amdhsa_system_sgpr_workgroup_id_z 0
		.amdhsa_system_sgpr_workgroup_info 0
		.amdhsa_system_vgpr_workitem_id 0
		.amdhsa_next_free_vgpr 112
		.amdhsa_next_free_sgpr 32
		.amdhsa_accum_offset 112
		.amdhsa_reserve_vcc 1
		.amdhsa_float_round_mode_32 0
		.amdhsa_float_round_mode_16_64 0
		.amdhsa_float_denorm_mode_32 3
		.amdhsa_float_denorm_mode_16_64 3
		.amdhsa_dx10_clamp 1
		.amdhsa_ieee_mode 1
		.amdhsa_fp16_overflow 0
		.amdhsa_tg_split 0
		.amdhsa_exception_fp_ieee_invalid_op 0
		.amdhsa_exception_fp_denorm_src 0
		.amdhsa_exception_fp_ieee_div_zero 0
		.amdhsa_exception_fp_ieee_overflow 0
		.amdhsa_exception_fp_ieee_underflow 0
		.amdhsa_exception_fp_ieee_inexact 0
		.amdhsa_exception_int_div_zero 0
	.end_amdhsa_kernel
	.text
.Lfunc_end0:
	.size	fft_rtc_back_len1200_factors_5_5_16_3_wgs_225_tpt_75_halfLds_sp_op_CI_CI_sbrr_dirReg, .Lfunc_end0-fft_rtc_back_len1200_factors_5_5_16_3_wgs_225_tpt_75_halfLds_sp_op_CI_CI_sbrr_dirReg
                                        ; -- End function
	.section	.AMDGPU.csdata,"",@progbits
; Kernel info:
; codeLenInByte = 11948
; NumSgprs: 38
; NumVgprs: 112
; NumAgprs: 0
; TotalNumVgprs: 112
; ScratchSize: 0
; MemoryBound: 0
; FloatMode: 240
; IeeeMode: 1
; LDSByteSize: 0 bytes/workgroup (compile time only)
; SGPRBlocks: 4
; VGPRBlocks: 13
; NumSGPRsForWavesPerEU: 38
; NumVGPRsForWavesPerEU: 112
; AccumOffset: 112
; Occupancy: 4
; WaveLimiterHint : 1
; COMPUTE_PGM_RSRC2:SCRATCH_EN: 0
; COMPUTE_PGM_RSRC2:USER_SGPR: 2
; COMPUTE_PGM_RSRC2:TRAP_HANDLER: 0
; COMPUTE_PGM_RSRC2:TGID_X_EN: 1
; COMPUTE_PGM_RSRC2:TGID_Y_EN: 0
; COMPUTE_PGM_RSRC2:TGID_Z_EN: 0
; COMPUTE_PGM_RSRC2:TIDIG_COMP_CNT: 0
; COMPUTE_PGM_RSRC3_GFX90A:ACCUM_OFFSET: 27
; COMPUTE_PGM_RSRC3_GFX90A:TG_SPLIT: 0
	.text
	.p2alignl 6, 3212836864
	.fill 256, 4, 3212836864
	.type	__hip_cuid_a9334db54c466e48,@object ; @__hip_cuid_a9334db54c466e48
	.section	.bss,"aw",@nobits
	.globl	__hip_cuid_a9334db54c466e48
__hip_cuid_a9334db54c466e48:
	.byte	0                               ; 0x0
	.size	__hip_cuid_a9334db54c466e48, 1

	.ident	"AMD clang version 19.0.0git (https://github.com/RadeonOpenCompute/llvm-project roc-6.4.0 25133 c7fe45cf4b819c5991fe208aaa96edf142730f1d)"
	.section	".note.GNU-stack","",@progbits
	.addrsig
	.addrsig_sym __hip_cuid_a9334db54c466e48
	.amdgpu_metadata
---
amdhsa.kernels:
  - .agpr_count:     0
    .args:
      - .actual_access:  read_only
        .address_space:  global
        .offset:         0
        .size:           8
        .value_kind:     global_buffer
      - .offset:         8
        .size:           8
        .value_kind:     by_value
      - .actual_access:  read_only
        .address_space:  global
        .offset:         16
        .size:           8
        .value_kind:     global_buffer
      - .actual_access:  read_only
        .address_space:  global
        .offset:         24
        .size:           8
        .value_kind:     global_buffer
      - .actual_access:  read_only
        .address_space:  global
        .offset:         32
        .size:           8
        .value_kind:     global_buffer
      - .offset:         40
        .size:           8
        .value_kind:     by_value
      - .actual_access:  read_only
        .address_space:  global
        .offset:         48
        .size:           8
        .value_kind:     global_buffer
      - .actual_access:  read_only
        .address_space:  global
        .offset:         56
        .size:           8
        .value_kind:     global_buffer
      - .offset:         64
        .size:           4
        .value_kind:     by_value
      - .actual_access:  read_only
        .address_space:  global
        .offset:         72
        .size:           8
        .value_kind:     global_buffer
      - .actual_access:  read_only
        .address_space:  global
        .offset:         80
        .size:           8
        .value_kind:     global_buffer
      - .actual_access:  read_only
        .address_space:  global
        .offset:         88
        .size:           8
        .value_kind:     global_buffer
      - .actual_access:  write_only
        .address_space:  global
        .offset:         96
        .size:           8
        .value_kind:     global_buffer
    .group_segment_fixed_size: 0
    .kernarg_segment_align: 8
    .kernarg_segment_size: 104
    .language:       OpenCL C
    .language_version:
      - 2
      - 0
    .max_flat_workgroup_size: 225
    .name:           fft_rtc_back_len1200_factors_5_5_16_3_wgs_225_tpt_75_halfLds_sp_op_CI_CI_sbrr_dirReg
    .private_segment_fixed_size: 0
    .sgpr_count:     38
    .sgpr_spill_count: 0
    .symbol:         fft_rtc_back_len1200_factors_5_5_16_3_wgs_225_tpt_75_halfLds_sp_op_CI_CI_sbrr_dirReg.kd
    .uniform_work_group_size: 1
    .uses_dynamic_stack: false
    .vgpr_count:     112
    .vgpr_spill_count: 0
    .wavefront_size: 64
amdhsa.target:   amdgcn-amd-amdhsa--gfx950
amdhsa.version:
  - 1
  - 2
...

	.end_amdgpu_metadata
